;; amdgpu-corpus repo=ROCm/rocFFT kind=compiled arch=gfx906 opt=O3
	.text
	.amdgcn_target "amdgcn-amd-amdhsa--gfx906"
	.amdhsa_code_object_version 6
	.protected	bluestein_single_back_len2700_dim1_dp_op_CI_CI ; -- Begin function bluestein_single_back_len2700_dim1_dp_op_CI_CI
	.globl	bluestein_single_back_len2700_dim1_dp_op_CI_CI
	.p2align	8
	.type	bluestein_single_back_len2700_dim1_dp_op_CI_CI,@function
bluestein_single_back_len2700_dim1_dp_op_CI_CI: ; @bluestein_single_back_len2700_dim1_dp_op_CI_CI
; %bb.0:
	s_load_dwordx4 s[12:15], s[4:5], 0x28
	s_mov_b64 s[38:39], s[2:3]
	v_mul_u32_u24_e32 v3, 0x2d9, v0
	s_mov_b64 s[36:37], s[0:1]
	v_add_u32_sdwa v1, s6, v3 dst_sel:DWORD dst_unused:UNUSED_PAD src0_sel:DWORD src1_sel:WORD_1
	v_mov_b32_e32 v2, 0
	s_add_u32 s36, s36, s7
	s_waitcnt lgkmcnt(0)
	v_cmp_gt_u64_e32 vcc, s[12:13], v[1:2]
	s_addc_u32 s37, s37, 0
	s_and_saveexec_b64 s[0:1], vcc
	s_cbranch_execz .LBB0_2
; %bb.1:
	s_load_dwordx4 s[8:11], s[4:5], 0x0
	s_load_dwordx4 s[20:23], s[4:5], 0x18
	s_load_dwordx2 s[12:13], s[4:5], 0x38
	s_movk_i32 s16, 0x5a
	v_mul_lo_u16_sdwa v2, v3, s16 dst_sel:DWORD dst_unused:UNUSED_PAD src0_sel:WORD_1 src1_sel:DWORD
	v_sub_u16_e32 v173, v0, v2
	s_waitcnt lgkmcnt(0)
	s_load_dwordx4 s[0:3], s[22:23], 0x0
	v_lshlrev_b32_e32 v104, 4, v173
	s_movk_i32 s26, 0x3000
	s_movk_i32 s27, 0x1000
	s_movk_i32 s28, 0x2000
	s_waitcnt lgkmcnt(0)
	v_mad_u64_u32 v[4:5], s[4:5], s2, v1, 0
	v_add_u32_e32 v179, 0x168, v173
	v_add_u32_e32 v181, 0x1c2, v173
	v_mov_b32_e32 v0, v5
	v_mad_u64_u32 v[2:3], s[2:3], s3, v1, v[0:1]
	s_movk_i32 s29, 0x90
                                        ; kill: killed $sgpr8_sgpr9
	s_mov_b32 s17, 0xbfee6f0e
	v_mov_b32_e32 v5, v2
	buffer_store_dword v4, off, s[36:39], 0 offset:16 ; 4-byte Folded Spill
	s_nop 0
	buffer_store_dword v5, off, s[36:39], 0 offset:20 ; 4-byte Folded Spill
	global_load_dwordx4 v[10:13], v104, s[8:9]
	s_load_dwordx4 s[4:7], s[20:21], 0x0
	s_mov_b32 s19, 0xbfe2cf23
	s_mov_b32 s20, 0x9b97f4a8
	;; [unrolled: 1-line block ×4, first 2 shown]
	s_waitcnt lgkmcnt(0)
	v_mad_u64_u32 v[2:3], s[2:3], s6, v1, 0
	s_movk_i32 s6, 0x7000
	s_mov_b32 s25, 0xbfe9e377
	v_mov_b32_e32 v0, v3
	v_mad_u64_u32 v[0:1], s[2:3], s7, v1, v[0:1]
	s_mov_b32 s24, s20
	v_mov_b32_e32 v3, v0
	v_mad_u64_u32 v[0:1], s[2:3], s4, v173, 0
	v_mad_u64_u32 v[4:5], s[2:3], s5, v173, v[1:2]
	v_lshlrev_b64 v[2:3], 4, v[2:3]
	s_mul_i32 s2, s5, 0x3840
	v_mov_b32_e32 v1, v4
	v_add_co_u32_e32 v2, vcc, s14, v2
	v_mov_b32_e32 v4, s15
	v_lshlrev_b64 v[0:1], 4, v[0:1]
	v_addc_co_u32_e32 v3, vcc, v4, v3, vcc
	v_add_co_u32_e32 v8, vcc, v2, v0
	v_addc_co_u32_e32 v9, vcc, v3, v1, vcc
	global_load_dwordx4 v[0:3], v[8:9], off
	v_add_co_u32_e32 v166, vcc, s8, v104
	v_mov_b32_e32 v4, s9
	v_addc_co_u32_e32 v219, vcc, 0, v4, vcc
	s_mul_hi_u32 s3, s4, 0x3840
	s_add_i32 s2, s3, s2
	s_mul_i32 s3, s4, 0x3840
	s_mulk_i32 s5, 0x9520
	s_mov_b32 s14, 0x372fe950
	s_mov_b32 s15, 0x3fd3c6ef
	;; [unrolled: 1-line block ×3, first 2 shown]
	s_waitcnt vmcnt(1)
	buffer_store_dword v10, off, s[36:39], 0 offset:24 ; 4-byte Folded Spill
	s_nop 0
	buffer_store_dword v11, off, s[36:39], 0 offset:28 ; 4-byte Folded Spill
	buffer_store_dword v12, off, s[36:39], 0 offset:32 ; 4-byte Folded Spill
	;; [unrolled: 1-line block ×3, first 2 shown]
	s_waitcnt vmcnt(4)
	v_mul_f64 v[4:5], v[2:3], v[12:13]
	v_fma_f64 v[4:5], v[0:1], v[10:11], v[4:5]
	v_mul_f64 v[0:1], v[0:1], v[12:13]
	v_fma_f64 v[6:7], v[2:3], v[10:11], -v[0:1]
	v_add_co_u32_e32 v10, vcc, s3, v8
	v_mov_b32_e32 v0, s2
	v_addc_co_u32_e32 v11, vcc, v9, v0, vcc
	v_add_co_u32_e32 v0, vcc, s26, v166
	v_addc_co_u32_e32 v1, vcc, 0, v219, vcc
	global_load_dwordx4 v[12:15], v[0:1], off offset:2112
	ds_write_b128 v104, v[4:7]
	global_load_dwordx4 v[2:5], v[10:11], off
	v_add_co_u32_e32 v10, vcc, s3, v10
	s_waitcnt vmcnt(1)
	buffer_store_dword v12, off, s[36:39], 0 offset:40 ; 4-byte Folded Spill
	s_nop 0
	buffer_store_dword v13, off, s[36:39], 0 offset:44 ; 4-byte Folded Spill
	buffer_store_dword v14, off, s[36:39], 0 offset:48 ; 4-byte Folded Spill
	buffer_store_dword v15, off, s[36:39], 0 offset:52 ; 4-byte Folded Spill
	s_waitcnt vmcnt(4)
	v_mul_f64 v[6:7], v[4:5], v[14:15]
	v_fma_f64 v[6:7], v[2:3], v[12:13], v[6:7]
	v_mul_f64 v[2:3], v[2:3], v[14:15]
	v_fma_f64 v[8:9], v[4:5], v[12:13], -v[2:3]
	v_mov_b32_e32 v2, s2
	v_addc_co_u32_e32 v11, vcc, v11, v2, vcc
	v_add_co_u32_e32 v12, vcc, s6, v166
	v_addc_co_u32_e32 v13, vcc, 0, v219, vcc
	global_load_dwordx4 v[14:17], v[12:13], off offset:128
	global_load_dwordx4 v[2:5], v[10:11], off
	ds_write_b128 v104, v[6:9] offset:14400
	s_mul_hi_u32 s6, s4, 0xffff9520
	s_sub_i32 s6, s6, s4
	v_add_co_u32_e32 v105, vcc, s16, v173
	s_add_i32 s5, s6, s5
	s_mulk_i32 s4, 0x9520
	v_add_co_u32_e32 v10, vcc, s4, v10
	s_movk_i32 s6, 0xb4
                                        ; kill: killed $vgpr12 killed $vgpr13
	s_waitcnt vmcnt(1)
	buffer_store_dword v14, off, s[36:39], 0 offset:56 ; 4-byte Folded Spill
	s_nop 0
	buffer_store_dword v15, off, s[36:39], 0 offset:60 ; 4-byte Folded Spill
	buffer_store_dword v16, off, s[36:39], 0 offset:64 ; 4-byte Folded Spill
	buffer_store_dword v17, off, s[36:39], 0 offset:68 ; 4-byte Folded Spill
	s_waitcnt vmcnt(4)
	v_mul_f64 v[6:7], v[4:5], v[16:17]
	v_fma_f64 v[6:7], v[2:3], v[14:15], v[6:7]
	v_mul_f64 v[2:3], v[2:3], v[16:17]
	v_fma_f64 v[8:9], v[4:5], v[14:15], -v[2:3]
	v_mov_b32_e32 v2, s5
	v_addc_co_u32_e32 v11, vcc, v11, v2, vcc
	ds_write_b128 v104, v[6:9] offset:28800
	global_load_dwordx4 v[2:5], v[10:11], off
	global_load_dwordx4 v[14:17], v104, s[8:9] offset:1440
	v_add_co_u32_e32 v10, vcc, s3, v10
	s_waitcnt vmcnt(0)
	buffer_store_dword v14, off, s[36:39], 0 offset:72 ; 4-byte Folded Spill
	s_nop 0
	buffer_store_dword v15, off, s[36:39], 0 offset:76 ; 4-byte Folded Spill
	buffer_store_dword v16, off, s[36:39], 0 offset:80 ; 4-byte Folded Spill
	;; [unrolled: 1-line block ×3, first 2 shown]
	v_mul_f64 v[6:7], v[4:5], v[16:17]
	v_fma_f64 v[6:7], v[2:3], v[14:15], v[6:7]
	v_mul_f64 v[2:3], v[2:3], v[16:17]
	v_fma_f64 v[8:9], v[4:5], v[14:15], -v[2:3]
	v_mov_b32_e32 v2, s2
	v_addc_co_u32_e32 v11, vcc, v11, v2, vcc
	ds_write_b128 v104, v[6:9] offset:1440
	global_load_dwordx4 v[2:5], v[10:11], off
	global_load_dwordx4 v[14:17], v[0:1], off offset:3552
	v_add_co_u32_e32 v10, vcc, s3, v10
	s_waitcnt vmcnt(0)
	buffer_store_dword v14, off, s[36:39], 0 offset:88 ; 4-byte Folded Spill
	s_nop 0
	buffer_store_dword v15, off, s[36:39], 0 offset:92 ; 4-byte Folded Spill
	buffer_store_dword v16, off, s[36:39], 0 offset:96 ; 4-byte Folded Spill
	;; [unrolled: 1-line block ×3, first 2 shown]
	v_mul_f64 v[6:7], v[4:5], v[16:17]
	v_fma_f64 v[6:7], v[2:3], v[14:15], v[6:7]
	v_mul_f64 v[2:3], v[2:3], v[16:17]
	v_fma_f64 v[8:9], v[4:5], v[14:15], -v[2:3]
	v_mov_b32_e32 v2, s2
	v_addc_co_u32_e32 v11, vcc, v11, v2, vcc
	v_add_co_u32_e32 v180, vcc, s6, v173
	s_movk_i32 s6, 0x4000
	ds_write_b128 v104, v[6:9] offset:15840
	global_load_dwordx4 v[2:5], v[10:11], off
	global_load_dwordx4 v[14:17], v[12:13], off offset:1568
	v_add_co_u32_e32 v10, vcc, s4, v10
	s_waitcnt vmcnt(0)
	buffer_store_dword v14, off, s[36:39], 0 offset:104 ; 4-byte Folded Spill
	s_nop 0
	buffer_store_dword v15, off, s[36:39], 0 offset:108 ; 4-byte Folded Spill
	buffer_store_dword v16, off, s[36:39], 0 offset:112 ; 4-byte Folded Spill
	;; [unrolled: 1-line block ×3, first 2 shown]
	v_mul_f64 v[6:7], v[4:5], v[16:17]
	v_fma_f64 v[6:7], v[2:3], v[14:15], v[6:7]
	v_mul_f64 v[2:3], v[2:3], v[16:17]
	v_fma_f64 v[8:9], v[4:5], v[14:15], -v[2:3]
	v_mov_b32_e32 v2, s5
	v_addc_co_u32_e32 v11, vcc, v11, v2, vcc
	ds_write_b128 v104, v[6:9] offset:30240
	global_load_dwordx4 v[2:5], v[10:11], off
	global_load_dwordx4 v[14:17], v104, s[8:9] offset:2880
	v_add_co_u32_e32 v10, vcc, s3, v10
	s_waitcnt vmcnt(0)
	buffer_store_dword v14, off, s[36:39], 0 offset:120 ; 4-byte Folded Spill
	s_nop 0
	buffer_store_dword v15, off, s[36:39], 0 offset:124 ; 4-byte Folded Spill
	buffer_store_dword v16, off, s[36:39], 0 offset:128 ; 4-byte Folded Spill
	;; [unrolled: 1-line block ×3, first 2 shown]
	v_mul_f64 v[6:7], v[4:5], v[16:17]
	v_fma_f64 v[6:7], v[2:3], v[14:15], v[6:7]
	v_mul_f64 v[2:3], v[2:3], v[16:17]
	v_fma_f64 v[8:9], v[4:5], v[14:15], -v[2:3]
	v_mov_b32_e32 v2, s2
	v_addc_co_u32_e32 v11, vcc, v11, v2, vcc
	v_add_co_u32_e32 v14, vcc, s6, v166
	v_addc_co_u32_e32 v15, vcc, 0, v219, vcc
	global_load_dwordx4 v[16:19], v[14:15], off offset:896
	global_load_dwordx4 v[2:5], v[10:11], off
	ds_write_b128 v104, v[6:9] offset:2880
	v_add_co_u32_e32 v10, vcc, s3, v10
	s_movk_i32 s6, 0x10e
                                        ; kill: killed $vgpr14 killed $vgpr15
	s_waitcnt vmcnt(1)
	buffer_store_dword v16, off, s[36:39], 0 offset:136 ; 4-byte Folded Spill
	s_nop 0
	buffer_store_dword v17, off, s[36:39], 0 offset:140 ; 4-byte Folded Spill
	buffer_store_dword v18, off, s[36:39], 0 offset:144 ; 4-byte Folded Spill
	;; [unrolled: 1-line block ×3, first 2 shown]
	s_waitcnt vmcnt(4)
	v_mul_f64 v[6:7], v[4:5], v[18:19]
	v_fma_f64 v[6:7], v[2:3], v[16:17], v[6:7]
	v_mul_f64 v[2:3], v[2:3], v[18:19]
	v_fma_f64 v[8:9], v[4:5], v[16:17], -v[2:3]
	v_mov_b32_e32 v2, s2
	v_addc_co_u32_e32 v11, vcc, v11, v2, vcc
	v_add_co_u32_e32 v171, vcc, s6, v173
	v_addc_co_u32_e64 v183, s[6:7], 0, 0, vcc
	ds_write_b128 v104, v[6:9] offset:17280
	global_load_dwordx4 v[2:5], v[10:11], off
	global_load_dwordx4 v[16:19], v[12:13], off offset:3008
	v_add_co_u32_e32 v10, vcc, s4, v10
	s_mov_b32 s6, 0x8000
	s_waitcnt vmcnt(0)
	buffer_store_dword v16, off, s[36:39], 0 offset:152 ; 4-byte Folded Spill
	s_nop 0
	buffer_store_dword v17, off, s[36:39], 0 offset:156 ; 4-byte Folded Spill
	buffer_store_dword v18, off, s[36:39], 0 offset:160 ; 4-byte Folded Spill
	;; [unrolled: 1-line block ×3, first 2 shown]
	v_mul_f64 v[6:7], v[4:5], v[18:19]
	v_fma_f64 v[6:7], v[2:3], v[16:17], v[6:7]
	v_mul_f64 v[2:3], v[2:3], v[18:19]
	v_fma_f64 v[8:9], v[4:5], v[16:17], -v[2:3]
	v_mov_b32_e32 v2, s5
	v_addc_co_u32_e32 v11, vcc, v11, v2, vcc
	v_add_co_u32_e32 v12, vcc, s27, v166
	v_addc_co_u32_e32 v13, vcc, 0, v219, vcc
	global_load_dwordx4 v[16:19], v[12:13], off offset:224
	global_load_dwordx4 v[2:5], v[10:11], off
	ds_write_b128 v104, v[6:9] offset:31680
	v_add_co_u32_e32 v10, vcc, s3, v10
                                        ; kill: killed $vgpr12 killed $vgpr13
	s_waitcnt vmcnt(1)
	buffer_store_dword v16, off, s[36:39], 0 offset:184 ; 4-byte Folded Spill
	s_nop 0
	buffer_store_dword v17, off, s[36:39], 0 offset:188 ; 4-byte Folded Spill
	buffer_store_dword v18, off, s[36:39], 0 offset:192 ; 4-byte Folded Spill
	buffer_store_dword v19, off, s[36:39], 0 offset:196 ; 4-byte Folded Spill
	s_waitcnt vmcnt(4)
	v_mul_f64 v[6:7], v[4:5], v[18:19]
	v_fma_f64 v[6:7], v[2:3], v[16:17], v[6:7]
	v_mul_f64 v[2:3], v[2:3], v[18:19]
	v_fma_f64 v[8:9], v[4:5], v[16:17], -v[2:3]
	v_mov_b32_e32 v2, s2
	v_addc_co_u32_e32 v11, vcc, v11, v2, vcc
	ds_write_b128 v104, v[6:9] offset:4320
	global_load_dwordx4 v[2:5], v[10:11], off
	global_load_dwordx4 v[16:19], v[14:15], off offset:2336
	v_add_co_u32_e32 v10, vcc, s3, v10
	s_waitcnt vmcnt(0)
	buffer_store_dword v16, off, s[36:39], 0 offset:232 ; 4-byte Folded Spill
	s_nop 0
	buffer_store_dword v17, off, s[36:39], 0 offset:236 ; 4-byte Folded Spill
	buffer_store_dword v18, off, s[36:39], 0 offset:240 ; 4-byte Folded Spill
	;; [unrolled: 1-line block ×3, first 2 shown]
	v_mul_f64 v[6:7], v[4:5], v[18:19]
	v_fma_f64 v[6:7], v[2:3], v[16:17], v[6:7]
	v_mul_f64 v[2:3], v[2:3], v[18:19]
	v_fma_f64 v[8:9], v[4:5], v[16:17], -v[2:3]
	v_mov_b32_e32 v2, s2
	v_addc_co_u32_e32 v11, vcc, v11, v2, vcc
	v_add_co_u32_e32 v16, vcc, s6, v166
	v_addc_co_u32_e32 v17, vcc, 0, v219, vcc
	global_load_dwordx4 v[18:21], v[16:17], off offset:352
	global_load_dwordx4 v[2:5], v[10:11], off
	ds_write_b128 v104, v[6:9] offset:18720
	v_add_co_u32_e32 v10, vcc, s4, v10
	s_movk_i32 s6, 0x5000
                                        ; kill: killed $vgpr16 killed $vgpr17
	s_waitcnt vmcnt(1)
	buffer_store_dword v18, off, s[36:39], 0 offset:280 ; 4-byte Folded Spill
	s_nop 0
	buffer_store_dword v19, off, s[36:39], 0 offset:284 ; 4-byte Folded Spill
	buffer_store_dword v20, off, s[36:39], 0 offset:288 ; 4-byte Folded Spill
	;; [unrolled: 1-line block ×3, first 2 shown]
	s_waitcnt vmcnt(4)
	v_mul_f64 v[6:7], v[4:5], v[20:21]
	v_fma_f64 v[6:7], v[2:3], v[18:19], v[6:7]
	v_mul_f64 v[2:3], v[2:3], v[20:21]
	v_fma_f64 v[8:9], v[4:5], v[18:19], -v[2:3]
	v_mov_b32_e32 v2, s5
	v_addc_co_u32_e32 v11, vcc, v11, v2, vcc
	ds_write_b128 v104, v[6:9] offset:33120
	global_load_dwordx4 v[2:5], v[10:11], off
	global_load_dwordx4 v[18:21], v[12:13], off offset:1664
	v_add_co_u32_e32 v10, vcc, s3, v10
	s_waitcnt vmcnt(0)
	buffer_store_dword v18, off, s[36:39], 0 offset:328 ; 4-byte Folded Spill
	s_nop 0
	buffer_store_dword v19, off, s[36:39], 0 offset:332 ; 4-byte Folded Spill
	buffer_store_dword v20, off, s[36:39], 0 offset:336 ; 4-byte Folded Spill
	buffer_store_dword v21, off, s[36:39], 0 offset:340 ; 4-byte Folded Spill
	v_mul_f64 v[6:7], v[4:5], v[20:21]
	v_fma_f64 v[6:7], v[2:3], v[18:19], v[6:7]
	v_mul_f64 v[2:3], v[2:3], v[20:21]
	v_fma_f64 v[8:9], v[4:5], v[18:19], -v[2:3]
	v_mov_b32_e32 v2, s2
	v_addc_co_u32_e32 v11, vcc, v11, v2, vcc
	ds_write_b128 v104, v[6:9] offset:5760
	global_load_dwordx4 v[2:5], v[10:11], off
	global_load_dwordx4 v[18:21], v[14:15], off offset:3776
	v_add_co_u32_e32 v10, vcc, s3, v10
	s_waitcnt vmcnt(0)
	buffer_store_dword v18, off, s[36:39], 0 offset:440 ; 4-byte Folded Spill
	s_nop 0
	buffer_store_dword v19, off, s[36:39], 0 offset:444 ; 4-byte Folded Spill
	buffer_store_dword v20, off, s[36:39], 0 offset:448 ; 4-byte Folded Spill
	buffer_store_dword v21, off, s[36:39], 0 offset:452 ; 4-byte Folded Spill
	;; [unrolled: 16-line block ×4, first 2 shown]
	v_mul_f64 v[6:7], v[4:5], v[20:21]
	v_fma_f64 v[6:7], v[2:3], v[18:19], v[6:7]
	v_mul_f64 v[2:3], v[2:3], v[20:21]
	v_fma_f64 v[8:9], v[4:5], v[18:19], -v[2:3]
	v_mov_b32_e32 v2, s2
	v_addc_co_u32_e32 v11, vcc, v11, v2, vcc
	v_add_co_u32_e32 v12, vcc, s6, v166
	v_addc_co_u32_e32 v13, vcc, 0, v219, vcc
	global_load_dwordx4 v[18:21], v[12:13], off offset:1120
	global_load_dwordx4 v[2:5], v[10:11], off
	ds_write_b128 v104, v[6:9] offset:7200
	v_add_co_u32_e32 v10, vcc, s3, v10
	s_movk_i32 s6, 0x21c
                                        ; kill: killed $vgpr12 killed $vgpr13
	s_waitcnt vmcnt(1)
	buffer_store_dword v18, off, s[36:39], 0 offset:392 ; 4-byte Folded Spill
	s_nop 0
	buffer_store_dword v19, off, s[36:39], 0 offset:396 ; 4-byte Folded Spill
	buffer_store_dword v20, off, s[36:39], 0 offset:400 ; 4-byte Folded Spill
	;; [unrolled: 1-line block ×3, first 2 shown]
	s_waitcnt vmcnt(4)
	v_mul_f64 v[6:7], v[4:5], v[20:21]
	v_fma_f64 v[6:7], v[2:3], v[18:19], v[6:7]
	v_mul_f64 v[2:3], v[2:3], v[20:21]
	v_fma_f64 v[8:9], v[4:5], v[18:19], -v[2:3]
	v_mov_b32_e32 v2, s2
	v_addc_co_u32_e32 v11, vcc, v11, v2, vcc
	v_add_co_u32_e32 v182, vcc, s6, v173
	s_mov_b32 s6, 0x9000
	ds_write_b128 v104, v[6:9] offset:21600
	global_load_dwordx4 v[2:5], v[10:11], off
	global_load_dwordx4 v[18:21], v[16:17], off offset:3232
	v_add_co_u32_e32 v10, vcc, s4, v10
	s_waitcnt vmcnt(0)
	buffer_store_dword v18, off, s[36:39], 0 offset:376 ; 4-byte Folded Spill
	s_nop 0
	buffer_store_dword v19, off, s[36:39], 0 offset:380 ; 4-byte Folded Spill
	buffer_store_dword v20, off, s[36:39], 0 offset:384 ; 4-byte Folded Spill
	;; [unrolled: 1-line block ×3, first 2 shown]
	v_mul_f64 v[6:7], v[4:5], v[20:21]
	v_fma_f64 v[6:7], v[2:3], v[18:19], v[6:7]
	v_mul_f64 v[2:3], v[2:3], v[20:21]
	v_fma_f64 v[8:9], v[4:5], v[18:19], -v[2:3]
	v_mov_b32_e32 v2, s5
	v_addc_co_u32_e32 v11, vcc, v11, v2, vcc
	v_add_co_u32_e32 v14, vcc, s28, v166
	v_addc_co_u32_e32 v15, vcc, 0, v219, vcc
	global_load_dwordx4 v[16:19], v[14:15], off offset:448
	global_load_dwordx4 v[2:5], v[10:11], off
	ds_write_b128 v104, v[6:9] offset:36000
	v_add_co_u32_e32 v10, vcc, s3, v10
                                        ; kill: killed $vgpr14 killed $vgpr15
	s_waitcnt vmcnt(1)
	buffer_store_dword v16, off, s[36:39], 0 offset:360 ; 4-byte Folded Spill
	s_nop 0
	buffer_store_dword v17, off, s[36:39], 0 offset:364 ; 4-byte Folded Spill
	buffer_store_dword v18, off, s[36:39], 0 offset:368 ; 4-byte Folded Spill
	;; [unrolled: 1-line block ×3, first 2 shown]
	s_waitcnt vmcnt(4)
	v_mul_f64 v[6:7], v[4:5], v[18:19]
	v_fma_f64 v[6:7], v[2:3], v[16:17], v[6:7]
	v_mul_f64 v[2:3], v[2:3], v[18:19]
	v_fma_f64 v[8:9], v[4:5], v[16:17], -v[2:3]
	v_mov_b32_e32 v2, s2
	v_addc_co_u32_e32 v11, vcc, v11, v2, vcc
	ds_write_b128 v104, v[6:9] offset:8640
	global_load_dwordx4 v[2:5], v[10:11], off
	global_load_dwordx4 v[16:19], v[12:13], off offset:2560
	v_add_co_u32_e32 v10, vcc, s3, v10
	s_waitcnt vmcnt(0)
	buffer_store_dword v16, off, s[36:39], 0 offset:344 ; 4-byte Folded Spill
	s_nop 0
	buffer_store_dword v17, off, s[36:39], 0 offset:348 ; 4-byte Folded Spill
	buffer_store_dword v18, off, s[36:39], 0 offset:352 ; 4-byte Folded Spill
	;; [unrolled: 1-line block ×3, first 2 shown]
	v_mul_f64 v[6:7], v[4:5], v[18:19]
	v_fma_f64 v[6:7], v[2:3], v[16:17], v[6:7]
	v_mul_f64 v[2:3], v[2:3], v[18:19]
	v_fma_f64 v[8:9], v[4:5], v[16:17], -v[2:3]
	v_mov_b32_e32 v2, s2
	v_addc_co_u32_e32 v11, vcc, v11, v2, vcc
	v_add_co_u32_e32 v16, vcc, s6, v166
	v_addc_co_u32_e32 v17, vcc, 0, v219, vcc
	global_load_dwordx4 v[18:21], v[16:17], off offset:576
	global_load_dwordx4 v[2:5], v[10:11], off
	ds_write_b128 v104, v[6:9] offset:23040
	s_movk_i32 s6, 0x276
	v_add_co_u32_e32 v184, vcc, s6, v173
	v_add_co_u32_e32 v10, vcc, s4, v10
	s_movk_i32 s6, 0x2d0
	s_waitcnt vmcnt(1)
	buffer_store_dword v18, off, s[36:39], 0 offset:312 ; 4-byte Folded Spill
	s_nop 0
	buffer_store_dword v19, off, s[36:39], 0 offset:316 ; 4-byte Folded Spill
	buffer_store_dword v20, off, s[36:39], 0 offset:320 ; 4-byte Folded Spill
	;; [unrolled: 1-line block ×3, first 2 shown]
	s_waitcnt vmcnt(4)
	v_mul_f64 v[6:7], v[4:5], v[20:21]
	v_fma_f64 v[6:7], v[2:3], v[18:19], v[6:7]
	v_mul_f64 v[2:3], v[2:3], v[20:21]
	v_fma_f64 v[8:9], v[4:5], v[18:19], -v[2:3]
	v_mov_b32_e32 v2, s5
	v_addc_co_u32_e32 v11, vcc, v11, v2, vcc
	ds_write_b128 v104, v[6:9] offset:37440
	global_load_dwordx4 v[2:5], v[10:11], off
	global_load_dwordx4 v[18:21], v[14:15], off offset:1888
	v_add_co_u32_e32 v10, vcc, s3, v10
	s_waitcnt vmcnt(0)
	buffer_store_dword v18, off, s[36:39], 0 offset:296 ; 4-byte Folded Spill
	s_nop 0
	buffer_store_dword v19, off, s[36:39], 0 offset:300 ; 4-byte Folded Spill
	buffer_store_dword v20, off, s[36:39], 0 offset:304 ; 4-byte Folded Spill
	;; [unrolled: 1-line block ×3, first 2 shown]
	v_mul_f64 v[6:7], v[4:5], v[20:21]
	v_fma_f64 v[6:7], v[2:3], v[18:19], v[6:7]
	v_mul_f64 v[2:3], v[2:3], v[20:21]
	v_fma_f64 v[8:9], v[4:5], v[18:19], -v[2:3]
	v_mov_b32_e32 v2, s2
	v_addc_co_u32_e32 v11, vcc, v11, v2, vcc
	ds_write_b128 v104, v[6:9] offset:10080
	global_load_dwordx4 v[2:5], v[10:11], off
	global_load_dwordx4 v[18:21], v[12:13], off offset:4000
	v_add_co_u32_e32 v10, vcc, s3, v10
	s_waitcnt vmcnt(0)
	buffer_store_dword v18, off, s[36:39], 0 offset:264 ; 4-byte Folded Spill
	s_nop 0
	buffer_store_dword v19, off, s[36:39], 0 offset:268 ; 4-byte Folded Spill
	buffer_store_dword v20, off, s[36:39], 0 offset:272 ; 4-byte Folded Spill
	;; [unrolled: 1-line block ×3, first 2 shown]
	v_mul_f64 v[6:7], v[4:5], v[20:21]
	v_fma_f64 v[6:7], v[2:3], v[18:19], v[6:7]
	v_mul_f64 v[2:3], v[2:3], v[20:21]
	v_fma_f64 v[8:9], v[4:5], v[18:19], -v[2:3]
	v_mov_b32_e32 v2, s2
	v_addc_co_u32_e32 v11, vcc, v11, v2, vcc
	v_add_co_u32_e32 v185, vcc, s6, v173
	s_movk_i32 s6, 0x6000
	ds_write_b128 v104, v[6:9] offset:24480
	global_load_dwordx4 v[2:5], v[10:11], off
	global_load_dwordx4 v[18:21], v[16:17], off offset:2016
	v_add_co_u32_e32 v10, vcc, s4, v10
	s_waitcnt vmcnt(0)
	buffer_store_dword v18, off, s[36:39], 0 offset:248 ; 4-byte Folded Spill
	s_nop 0
	buffer_store_dword v19, off, s[36:39], 0 offset:252 ; 4-byte Folded Spill
	buffer_store_dword v20, off, s[36:39], 0 offset:256 ; 4-byte Folded Spill
	;; [unrolled: 1-line block ×3, first 2 shown]
	v_mul_f64 v[6:7], v[4:5], v[20:21]
	v_fma_f64 v[6:7], v[2:3], v[18:19], v[6:7]
	v_mul_f64 v[2:3], v[2:3], v[20:21]
	v_fma_f64 v[8:9], v[4:5], v[18:19], -v[2:3]
	v_mov_b32_e32 v2, s5
	v_addc_co_u32_e32 v11, vcc, v11, v2, vcc
	v_add_co_u32_e32 v12, vcc, s3, v10
	ds_write_b128 v104, v[6:9] offset:38880
	global_load_dwordx4 v[2:5], v[10:11], off
	global_load_dwordx4 v[18:21], v[14:15], off offset:3328
	s_waitcnt vmcnt(0)
	buffer_store_dword v18, off, s[36:39], 0 offset:216 ; 4-byte Folded Spill
	s_nop 0
	buffer_store_dword v19, off, s[36:39], 0 offset:220 ; 4-byte Folded Spill
	buffer_store_dword v20, off, s[36:39], 0 offset:224 ; 4-byte Folded Spill
	buffer_store_dword v21, off, s[36:39], 0 offset:228 ; 4-byte Folded Spill
	v_mul_f64 v[6:7], v[4:5], v[20:21]
	v_fma_f64 v[6:7], v[2:3], v[18:19], v[6:7]
	v_mul_f64 v[2:3], v[2:3], v[20:21]
	v_fma_f64 v[8:9], v[4:5], v[18:19], -v[2:3]
	v_mov_b32_e32 v2, s2
	v_addc_co_u32_e32 v13, vcc, v11, v2, vcc
	v_add_co_u32_e32 v2, vcc, s6, v166
	v_addc_co_u32_e32 v3, vcc, 0, v219, vcc
	global_load_dwordx4 v[18:21], v[2:3], off offset:1344
	ds_write_b128 v104, v[6:9] offset:11520
	global_load_dwordx4 v[4:7], v[12:13], off
	v_add_co_u32_e32 v12, vcc, s3, v12
	s_movk_i32 s6, 0x32a
	s_waitcnt vmcnt(1)
	buffer_store_dword v18, off, s[36:39], 0 offset:200 ; 4-byte Folded Spill
	s_nop 0
	buffer_store_dword v19, off, s[36:39], 0 offset:204 ; 4-byte Folded Spill
	buffer_store_dword v20, off, s[36:39], 0 offset:208 ; 4-byte Folded Spill
	;; [unrolled: 1-line block ×3, first 2 shown]
	s_waitcnt vmcnt(4)
	v_mul_f64 v[8:9], v[6:7], v[20:21]
	v_fma_f64 v[8:9], v[4:5], v[18:19], v[8:9]
	v_mul_f64 v[4:5], v[4:5], v[20:21]
	v_fma_f64 v[10:11], v[6:7], v[18:19], -v[4:5]
	v_mov_b32_e32 v4, s2
	v_addc_co_u32_e32 v13, vcc, v13, v4, vcc
	v_add_co_u32_e32 v186, vcc, s6, v173
	s_movk_i32 s6, 0xab
	ds_write_b128 v104, v[8:11] offset:25920
	global_load_dwordx4 v[4:7], v[12:13], off
	s_nop 0
	global_load_dwordx4 v[14:17], v[16:17], off offset:3456
	s_waitcnt vmcnt(0)
	buffer_store_dword v14, off, s[36:39], 0 offset:168 ; 4-byte Folded Spill
	s_nop 0
	buffer_store_dword v15, off, s[36:39], 0 offset:172 ; 4-byte Folded Spill
	buffer_store_dword v16, off, s[36:39], 0 offset:176 ; 4-byte Folded Spill
	;; [unrolled: 1-line block ×3, first 2 shown]
	v_mul_f64 v[8:9], v[6:7], v[16:17]
	v_fma_f64 v[8:9], v[4:5], v[14:15], v[8:9]
	v_mul_f64 v[4:5], v[4:5], v[16:17]
	v_fma_f64 v[10:11], v[6:7], v[14:15], -v[4:5]
	v_add_co_u32_e32 v4, vcc, s4, v12
	v_mov_b32_e32 v5, s5
	v_addc_co_u32_e32 v5, vcc, v13, v5, vcc
	s_mov_b32 s4, 0xe8584caa
	s_mov_b32 s5, 0x3febb67a
	ds_write_b128 v104, v[8:11] offset:40320
	global_load_dwordx4 v[6:9], v[4:5], off
	global_load_dwordx4 v[12:15], v[0:1], off offset:672
	s_waitcnt vmcnt(0)
	buffer_store_dword v12, off, s[36:39], 0 offset:456 ; 4-byte Folded Spill
	s_nop 0
	buffer_store_dword v13, off, s[36:39], 0 offset:460 ; 4-byte Folded Spill
	buffer_store_dword v14, off, s[36:39], 0 offset:464 ; 4-byte Folded Spill
	;; [unrolled: 1-line block ×3, first 2 shown]
	v_mul_f64 v[0:1], v[8:9], v[14:15]
	v_fma_f64 v[10:11], v[6:7], v[12:13], v[0:1]
	v_mul_f64 v[0:1], v[6:7], v[14:15]
	v_fma_f64 v[12:13], v[8:9], v[12:13], -v[0:1]
	v_add_co_u32_e32 v8, vcc, s3, v4
	v_mov_b32_e32 v0, s2
	v_addc_co_u32_e32 v9, vcc, v5, v0, vcc
	ds_write_b128 v104, v[10:13] offset:12960
	global_load_dwordx4 v[4:7], v[8:9], off
	global_load_dwordx4 v[10:13], v[2:3], off offset:2784
	s_waitcnt vmcnt(0)
	buffer_store_dword v10, off, s[36:39], 0 offset:472 ; 4-byte Folded Spill
	s_nop 0
	buffer_store_dword v11, off, s[36:39], 0 offset:476 ; 4-byte Folded Spill
	buffer_store_dword v12, off, s[36:39], 0 offset:480 ; 4-byte Folded Spill
	;; [unrolled: 1-line block ×3, first 2 shown]
	v_mul_f64 v[0:1], v[6:7], v[12:13]
	v_mul_f64 v[2:3], v[4:5], v[12:13]
	v_fma_f64 v[0:1], v[4:5], v[10:11], v[0:1]
	v_fma_f64 v[2:3], v[6:7], v[10:11], -v[2:3]
	ds_write_b128 v104, v[0:3] offset:27360
	v_add_co_u32_e32 v0, vcc, s3, v8
	v_mov_b32_e32 v1, s2
	v_addc_co_u32_e32 v1, vcc, v9, v1, vcc
	s_mov_b32 s2, 0xa000
	v_add_co_u32_e32 v4, vcc, s2, v166
	v_addc_co_u32_e32 v5, vcc, 0, v219, vcc
	global_load_dwordx4 v[0:3], v[0:1], off
	s_nop 0
	buffer_store_dword v4, off, s[36:39], 0 offset:1656 ; 4-byte Folded Spill
	s_nop 0
	buffer_store_dword v5, off, s[36:39], 0 offset:1660 ; 4-byte Folded Spill
	s_mov_b32 s3, 0xbfebb67a
	s_mov_b32 s2, s4
	global_load_dwordx4 v[4:7], v[4:5], off offset:800
	s_waitcnt vmcnt(0)
	v_mov_b32_e32 v9, v7
	v_mov_b32_e32 v8, v6
	;; [unrolled: 1-line block ×4, first 2 shown]
	v_mul_f64 v[4:5], v[2:3], v[8:9]
	v_fma_f64 v[4:5], v[0:1], v[6:7], v[4:5]
	v_mul_f64 v[0:1], v[0:1], v[8:9]
	buffer_store_dword v6, off, s[36:39], 0 ; 4-byte Folded Spill
	s_nop 0
	buffer_store_dword v7, off, s[36:39], 0 offset:4 ; 4-byte Folded Spill
	buffer_store_dword v8, off, s[36:39], 0 offset:8 ; 4-byte Folded Spill
	;; [unrolled: 1-line block ×3, first 2 shown]
	v_fma_f64 v[6:7], v[2:3], v[6:7], -v[0:1]
	ds_write_b128 v104, v[4:7] offset:41760
	s_waitcnt vmcnt(0) lgkmcnt(0)
	s_barrier
	ds_read_b128 v[12:15], v104
	ds_read_b128 v[36:39], v104 offset:14400
	ds_read_b128 v[40:43], v104 offset:28800
	;; [unrolled: 1-line block ×29, first 2 shown]
	s_waitcnt lgkmcnt(14)
	v_add_f64 v[16:17], v[12:13], v[36:37]
	v_add_f64 v[18:19], v[38:39], -v[42:43]
	v_add_f64 v[50:51], v[78:79], -v[82:83]
	;; [unrolled: 1-line block ×3, first 2 shown]
	s_waitcnt lgkmcnt(0)
	s_barrier
	v_add_f64 v[20:21], v[16:17], v[40:41]
	v_add_f64 v[16:17], v[36:37], v[40:41]
	v_add_f64 v[36:37], v[36:37], -v[40:41]
	v_fma_f64 v[12:13], v[16:17], -0.5, v[12:13]
	v_fma_f64 v[16:17], v[18:19], s[4:5], v[12:13]
	v_fma_f64 v[12:13], v[18:19], s[2:3], v[12:13]
	v_add_f64 v[18:19], v[14:15], v[38:39]
	v_add_f64 v[22:23], v[18:19], v[42:43]
	;; [unrolled: 1-line block ×3, first 2 shown]
	v_add_f64 v[38:39], v[66:67], -v[70:71]
	v_fma_f64 v[14:15], v[18:19], -0.5, v[14:15]
	v_fma_f64 v[18:19], v[36:37], s[2:3], v[14:15]
	v_fma_f64 v[14:15], v[36:37], s[4:5], v[14:15]
	v_add_f64 v[36:37], v[46:47], v[64:65]
	v_add_f64 v[44:45], v[36:37], v[68:69]
	;; [unrolled: 1-line block ×3, first 2 shown]
	v_fma_f64 v[36:37], v[36:37], -0.5, v[46:47]
	v_fma_f64 v[40:41], v[38:39], s[4:5], v[36:37]
	v_fma_f64 v[36:37], v[38:39], s[2:3], v[36:37]
	v_add_f64 v[38:39], v[48:49], v[66:67]
	v_add_f64 v[46:47], v[38:39], v[70:71]
	v_add_f64 v[38:39], v[66:67], v[70:71]
	v_fma_f64 v[38:39], v[38:39], -0.5, v[48:49]
	v_add_f64 v[48:49], v[64:65], -v[68:69]
	v_fma_f64 v[42:43], v[48:49], s[2:3], v[38:39]
	v_fma_f64 v[38:39], v[48:49], s[4:5], v[38:39]
	v_add_f64 v[48:49], v[72:73], v[76:77]
	v_add_f64 v[68:69], v[48:49], v[80:81]
	v_add_f64 v[48:49], v[76:77], v[80:81]
	v_fma_f64 v[48:49], v[48:49], -0.5, v[72:73]
	v_add_f64 v[72:73], v[76:77], -v[80:81]
	;; [unrolled: 7-line block ×5, first 2 shown]
	v_fma_f64 v[78:79], v[96:97], s[2:3], v[74:75]
	v_fma_f64 v[74:75], v[96:97], s[4:5], v[74:75]
	v_add_f64 v[96:97], v[124:125], v[132:133]
	v_add_f64 v[128:129], v[96:97], v[136:137]
	v_add_f64 v[96:97], v[132:133], v[136:137]
	v_fma_f64 v[96:97], v[96:97], -0.5, v[124:125]
	v_fma_f64 v[100:101], v[98:99], s[4:5], v[96:97]
	v_fma_f64 v[96:97], v[98:99], s[2:3], v[96:97]
	v_add_f64 v[98:99], v[126:127], v[134:135]
	v_add_f64 v[130:131], v[98:99], v[138:139]
	v_add_f64 v[98:99], v[134:135], v[138:139]
	v_fma_f64 v[98:99], v[98:99], -0.5, v[126:127]
	;; [unrolled: 6-line block ×3, first 2 shown]
	v_add_f64 v[108:109], v[114:115], -v[118:119]
	v_fma_f64 v[120:121], v[108:109], s[4:5], v[106:107]
	v_fma_f64 v[108:109], v[108:109], s[2:3], v[106:107]
	v_add_f64 v[106:107], v[110:111], v[114:115]
	v_add_f64 v[126:127], v[106:107], v[118:119]
	;; [unrolled: 1-line block ×3, first 2 shown]
	v_add_f64 v[114:115], v[86:87], -v[90:91]
	v_fma_f64 v[106:107], v[106:107], -0.5, v[110:111]
	v_add_f64 v[110:111], v[112:113], -v[116:117]
	v_fma_f64 v[122:123], v[110:111], s[2:3], v[106:107]
	v_fma_f64 v[110:111], v[110:111], s[4:5], v[106:107]
	v_add_f64 v[106:107], v[92:93], v[84:85]
	v_add_f64 v[112:113], v[106:107], v[88:89]
	;; [unrolled: 1-line block ×3, first 2 shown]
	v_add_f64 v[84:85], v[84:85], -v[88:89]
	v_add_f64 v[88:89], v[54:55], -v[58:59]
	v_fma_f64 v[106:107], v[106:107], -0.5, v[92:93]
	v_fma_f64 v[92:93], v[114:115], s[4:5], v[106:107]
	v_fma_f64 v[116:117], v[114:115], s[2:3], v[106:107]
	v_add_f64 v[106:107], v[94:95], v[86:87]
	v_add_f64 v[86:87], v[86:87], v[90:91]
	;; [unrolled: 1-line block ×3, first 2 shown]
	v_fma_f64 v[86:87], v[86:87], -0.5, v[94:95]
	v_fma_f64 v[94:95], v[84:85], s[2:3], v[86:87]
	v_fma_f64 v[118:119], v[84:85], s[4:5], v[86:87]
	v_add_f64 v[86:87], v[52:53], v[56:57]
	v_add_f64 v[84:85], v[60:61], v[52:53]
	v_add_f64 v[52:53], v[52:53], -v[56:57]
	v_fma_f64 v[86:87], v[86:87], -0.5, v[60:61]
	v_add_f64 v[84:85], v[84:85], v[56:57]
	v_add_f64 v[56:57], v[26:27], -v[30:31]
	v_fma_f64 v[60:61], v[88:89], s[4:5], v[86:87]
	v_fma_f64 v[88:89], v[88:89], s[2:3], v[86:87]
	v_add_f64 v[86:87], v[62:63], v[54:55]
	v_add_f64 v[54:55], v[54:55], v[58:59]
	;; [unrolled: 1-line block ×3, first 2 shown]
	v_fma_f64 v[54:55], v[54:55], -0.5, v[62:63]
	v_fma_f64 v[62:63], v[52:53], s[2:3], v[54:55]
	v_fma_f64 v[90:91], v[52:53], s[4:5], v[54:55]
	v_add_f64 v[54:55], v[24:25], v[28:29]
	v_add_f64 v[52:53], v[32:33], v[24:25]
	v_add_f64 v[24:25], v[24:25], -v[28:29]
	v_fma_f64 v[54:55], v[54:55], -0.5, v[32:33]
	v_add_f64 v[52:53], v[52:53], v[28:29]
	v_add_f64 v[28:29], v[2:3], -v[6:7]
	v_fma_f64 v[32:33], v[56:57], s[4:5], v[54:55]
	v_fma_f64 v[56:57], v[56:57], s[2:3], v[54:55]
	v_add_f64 v[54:55], v[34:35], v[26:27]
	v_add_f64 v[26:27], v[26:27], v[30:31]
	;; [unrolled: 1-line block ×3, first 2 shown]
	v_fma_f64 v[26:27], v[26:27], -0.5, v[34:35]
	v_fma_f64 v[34:35], v[24:25], s[2:3], v[26:27]
	v_fma_f64 v[58:59], v[24:25], s[4:5], v[26:27]
	v_add_f64 v[26:27], v[0:1], v[4:5]
	v_add_f64 v[24:25], v[8:9], v[0:1]
	v_add_f64 v[0:1], v[0:1], -v[4:5]
	v_fma_f64 v[26:27], v[26:27], -0.5, v[8:9]
	v_add_f64 v[24:25], v[24:25], v[4:5]
	v_fma_f64 v[8:9], v[28:29], s[4:5], v[26:27]
	v_fma_f64 v[28:29], v[28:29], s[2:3], v[26:27]
	v_add_f64 v[26:27], v[10:11], v[2:3]
	v_add_f64 v[2:3], v[2:3], v[6:7]
	;; [unrolled: 1-line block ×3, first 2 shown]
	v_fma_f64 v[2:3], v[2:3], -0.5, v[10:11]
	v_fma_f64 v[10:11], v[0:1], s[2:3], v[2:3]
	v_fma_f64 v[30:31], v[0:1], s[4:5], v[2:3]
	v_mul_lo_u16_e32 v0, 3, v173
	v_lshlrev_b32_e32 v0, 4, v0
	ds_write_b128 v0, v[20:23]
	ds_write_b128 v0, v[16:19] offset:16
	buffer_store_dword v0, off, s[36:39], 0 offset:592 ; 4-byte Folded Spill
	ds_write_b128 v0, v[12:15] offset:32
	v_mul_u32_u24_e32 v0, 3, v105
	v_lshlrev_b32_e32 v0, 4, v0
	buffer_store_dword v0, off, s[36:39], 0 offset:588 ; 4-byte Folded Spill
	ds_write_b128 v0, v[44:47]
	ds_write_b128 v0, v[40:43] offset:16
	ds_write_b128 v0, v[36:39] offset:32
	v_mul_u32_u24_e32 v0, 3, v180
	v_lshlrev_b32_e32 v0, 4, v0
	buffer_store_dword v0, off, s[36:39], 0 offset:584 ; 4-byte Folded Spill
	ds_write_b128 v0, v[68:71]
	ds_write_b128 v0, v[64:67] offset:16
	;; [unrolled: 6-line block ×7, first 2 shown]
	ds_write_b128 v0, v[88:91] offset:32
	v_mul_lo_u16_sdwa v88, v173, s6 dst_sel:DWORD dst_unused:UNUSED_PAD src0_sel:BYTE_0 src1_sel:DWORD
	v_lshrrev_b16_e32 v102, 9, v88
	v_mul_lo_u16_e32 v88, 3, v102
	v_sub_u16_e32 v88, v173, v88
	v_and_b32_e32 v164, 0xff, v88
	v_mov_b32_e32 v89, s11
	v_mov_b32_e32 v88, s10
	v_mul_u32_u24_e32 v0, 3, v185
	v_mad_u64_u32 v[122:123], s[8:9], v164, s29, v[88:89]
	v_lshlrev_b32_e32 v0, 4, v0
	buffer_store_dword v0, off, s[36:39], 0 offset:496 ; 4-byte Folded Spill
	ds_write_b128 v0, v[52:55]
	ds_write_b128 v0, v[32:35] offset:16
	ds_write_b128 v0, v[56:59] offset:32
	v_mul_u32_u24_e32 v0, 3, v186
	v_lshlrev_b32_e32 v0, 4, v0
	buffer_store_dword v0, off, s[36:39], 0 offset:492 ; 4-byte Folded Spill
	ds_write_b128 v0, v[24:27]
	ds_write_b128 v0, v[8:11] offset:16
	ds_write_b128 v0, v[28:31] offset:32
	s_waitcnt vmcnt(0) lgkmcnt(0)
	s_barrier
	ds_read_b128 v[8:11], v104
	ds_read_b128 v[90:93], v104 offset:4320
	ds_read_b128 v[94:97], v104 offset:8640
	;; [unrolled: 1-line block ×29, first 2 shown]
	global_load_dwordx4 v[132:135], v[122:123], off offset:48
	global_load_dwordx4 v[126:129], v[122:123], off offset:32
	;; [unrolled: 1-line block ×3, first 2 shown]
	global_load_dwordx4 v[140:143], v[122:123], off
	s_waitcnt vmcnt(0)
	buffer_store_dword v140, off, s[36:39], 0 offset:556 ; 4-byte Folded Spill
	s_nop 0
	buffer_store_dword v141, off, s[36:39], 0 offset:560 ; 4-byte Folded Spill
	buffer_store_dword v142, off, s[36:39], 0 offset:564 ; 4-byte Folded Spill
	;; [unrolled: 1-line block ×4, first 2 shown]
	s_nop 0
	buffer_store_dword v137, off, s[36:39], 0 offset:544 ; 4-byte Folded Spill
	buffer_store_dword v138, off, s[36:39], 0 offset:548 ; 4-byte Folded Spill
	;; [unrolled: 1-line block ×3, first 2 shown]
	v_mov_b32_e32 v103, s11
	s_mov_b32 s8, 0x4755a5e
	s_mov_b32 s9, 0x3fe2cf23
	;; [unrolled: 1-line block ×3, first 2 shown]
	s_movk_i32 s11, 0x89
	s_waitcnt lgkmcnt(14)
	v_mul_f64 v[124:125], v[92:93], v[142:143]
	v_fma_f64 v[130:131], v[90:91], v[140:141], -v[124:125]
	v_mul_f64 v[90:91], v[90:91], v[142:143]
	v_fma_f64 v[124:125], v[92:93], v[140:141], v[90:91]
	v_mul_f64 v[90:91], v[96:97], v[138:139]
	v_fma_f64 v[144:145], v[94:95], v[136:137], -v[90:91]
	v_mul_f64 v[90:91], v[94:95], v[138:139]
	v_mov_b32_e32 v92, v126
	v_mov_b32_e32 v93, v127
	;; [unrolled: 1-line block ×4, first 2 shown]
	buffer_store_dword v92, off, s[36:39], 0 offset:524 ; 4-byte Folded Spill
	s_nop 0
	buffer_store_dword v93, off, s[36:39], 0 offset:528 ; 4-byte Folded Spill
	buffer_store_dword v94, off, s[36:39], 0 offset:532 ; 4-byte Folded Spill
	;; [unrolled: 1-line block ×4, first 2 shown]
	s_nop 0
	buffer_store_dword v133, off, s[36:39], 0 offset:512 ; 4-byte Folded Spill
	buffer_store_dword v134, off, s[36:39], 0 offset:516 ; 4-byte Folded Spill
	;; [unrolled: 1-line block ×3, first 2 shown]
	v_fma_f64 v[140:141], v[96:97], v[136:137], v[90:91]
	v_mul_f64 v[90:91], v[100:101], v[94:95]
	v_fma_f64 v[128:129], v[98:99], v[92:93], -v[90:91]
	v_mul_f64 v[90:91], v[98:99], v[94:95]
	v_fma_f64 v[126:127], v[100:101], v[92:93], v[90:91]
	v_mul_f64 v[90:91], v[108:109], v[134:135]
	v_fma_f64 v[146:147], v[106:107], v[132:133], -v[90:91]
	v_mul_f64 v[90:91], v[106:107], v[134:135]
	v_fma_f64 v[142:143], v[108:109], v[132:133], v[90:91]
	global_load_dwordx4 v[92:95], v[122:123], off offset:112
	global_load_dwordx4 v[96:99], v[122:123], off offset:96
	;; [unrolled: 1-line block ×4, first 2 shown]
	s_waitcnt vmcnt(0)
	buffer_store_dword v132, off, s[36:39], 0 offset:644 ; 4-byte Folded Spill
	s_nop 0
	buffer_store_dword v133, off, s[36:39], 0 offset:648 ; 4-byte Folded Spill
	buffer_store_dword v134, off, s[36:39], 0 offset:652 ; 4-byte Folded Spill
	buffer_store_dword v135, off, s[36:39], 0 offset:656 ; 4-byte Folded Spill
	buffer_store_dword v106, off, s[36:39], 0 offset:628 ; 4-byte Folded Spill
	s_nop 0
	buffer_store_dword v107, off, s[36:39], 0 offset:632 ; 4-byte Folded Spill
	buffer_store_dword v108, off, s[36:39], 0 offset:636 ; 4-byte Folded Spill
	buffer_store_dword v109, off, s[36:39], 0 offset:640 ; 4-byte Folded Spill
	;; [unrolled: 5-line block ×4, first 2 shown]
	v_mul_f64 v[90:91], v[112:113], v[134:135]
	v_fma_f64 v[136:137], v[110:111], v[132:133], -v[90:91]
	v_mul_f64 v[90:91], v[110:111], v[134:135]
	v_fma_f64 v[132:133], v[112:113], v[132:133], v[90:91]
	v_mul_f64 v[90:91], v[116:117], v[108:109]
	v_fma_f64 v[156:157], v[114:115], v[106:107], -v[90:91]
	v_mul_f64 v[90:91], v[114:115], v[108:109]
	v_fma_f64 v[152:153], v[116:117], v[106:107], v[90:91]
	v_mul_f64 v[90:91], v[120:121], v[98:99]
	v_fma_f64 v[138:139], v[118:119], v[96:97], -v[90:91]
	v_mul_f64 v[90:91], v[118:119], v[98:99]
	v_fma_f64 v[134:135], v[120:121], v[96:97], v[90:91]
	v_mul_f64 v[90:91], v[150:151], v[94:95]
	v_fma_f64 v[158:159], v[148:149], v[92:93], -v[90:91]
	v_mul_f64 v[90:91], v[148:149], v[94:95]
	v_fma_f64 v[154:155], v[150:151], v[92:93], v[90:91]
	global_load_dwordx4 v[92:95], v[122:123], off offset:128
	s_waitcnt vmcnt(0)
	buffer_store_dword v92, off, s[36:39], 0 offset:660 ; 4-byte Folded Spill
	s_nop 0
	buffer_store_dword v93, off, s[36:39], 0 offset:664 ; 4-byte Folded Spill
	buffer_store_dword v94, off, s[36:39], 0 offset:668 ; 4-byte Folded Spill
	;; [unrolled: 1-line block ×3, first 2 shown]
	v_mul_f64 v[90:91], v[86:87], v[94:95]
	v_fma_f64 v[150:151], v[84:85], v[92:93], -v[90:91]
	v_mul_f64 v[84:85], v[84:85], v[94:95]
	v_fma_f64 v[148:149], v[86:87], v[92:93], v[84:85]
	v_mul_lo_u16_sdwa v84, v105, s6 dst_sel:DWORD dst_unused:UNUSED_PAD src0_sel:BYTE_0 src1_sel:DWORD
	v_lshrrev_b16_e32 v165, 9, v84
	v_mul_lo_u16_e32 v84, 3, v165
	v_sub_u16_e32 v84, v105, v84
	v_and_b32_e32 v169, 0xff, v84
	v_mad_u64_u32 v[84:85], s[6:7], v169, s29, v[88:89]
	global_load_dwordx4 v[90:93], v[84:85], off offset:48
	global_load_dwordx4 v[94:97], v[84:85], off offset:32
	;; [unrolled: 1-line block ×3, first 2 shown]
	global_load_dwordx4 v[106:109], v[84:85], off
	s_waitcnt vmcnt(0)
	buffer_store_dword v106, off, s[36:39], 0 offset:676 ; 4-byte Folded Spill
	s_nop 0
	buffer_store_dword v107, off, s[36:39], 0 offset:680 ; 4-byte Folded Spill
	buffer_store_dword v108, off, s[36:39], 0 offset:684 ; 4-byte Folded Spill
	buffer_store_dword v109, off, s[36:39], 0 offset:688 ; 4-byte Folded Spill
	buffer_store_dword v98, off, s[36:39], 0 offset:692 ; 4-byte Folded Spill
	s_nop 0
	buffer_store_dword v99, off, s[36:39], 0 offset:696 ; 4-byte Folded Spill
	buffer_store_dword v100, off, s[36:39], 0 offset:700 ; 4-byte Folded Spill
	buffer_store_dword v101, off, s[36:39], 0 offset:704 ; 4-byte Folded Spill
	;; [unrolled: 5-line block ×4, first 2 shown]
	s_mov_b32 s6, 0xaaab
	v_mul_f64 v[86:87], v[82:83], v[108:109]
	v_fma_f64 v[122:123], v[80:81], v[106:107], -v[86:87]
	v_mul_f64 v[80:81], v[80:81], v[108:109]
	v_fma_f64 v[80:81], v[82:83], v[106:107], v[80:81]
	v_mul_f64 v[82:83], v[78:79], v[100:101]
	v_fma_f64 v[82:83], v[76:77], v[98:99], -v[82:83]
	v_mul_f64 v[76:77], v[76:77], v[100:101]
	v_fma_f64 v[78:79], v[78:79], v[98:99], v[76:77]
	;; [unrolled: 4-line block ×4, first 2 shown]
	global_load_dwordx4 v[90:93], v[84:85], off offset:112
	global_load_dwordx4 v[94:97], v[84:85], off offset:96
	;; [unrolled: 1-line block ×4, first 2 shown]
	s_waitcnt vmcnt(0)
	v_mul_f64 v[68:69], v[66:67], v[108:109]
	v_fma_f64 v[68:69], v[64:65], v[106:107], -v[68:69]
	buffer_store_dword v106, off, s[36:39], 0 offset:740 ; 4-byte Folded Spill
	s_nop 0
	buffer_store_dword v107, off, s[36:39], 0 offset:744 ; 4-byte Folded Spill
	buffer_store_dword v108, off, s[36:39], 0 offset:748 ; 4-byte Folded Spill
	buffer_store_dword v109, off, s[36:39], 0 offset:752 ; 4-byte Folded Spill
	buffer_store_dword v98, off, s[36:39], 0 offset:756 ; 4-byte Folded Spill
	s_nop 0
	buffer_store_dword v99, off, s[36:39], 0 offset:760 ; 4-byte Folded Spill
	buffer_store_dword v100, off, s[36:39], 0 offset:764 ; 4-byte Folded Spill
	buffer_store_dword v101, off, s[36:39], 0 offset:768 ; 4-byte Folded Spill
	;; [unrolled: 5-line block ×4, first 2 shown]
	global_load_dwordx4 v[84:87], v[84:85], off offset:128
	v_mul_f64 v[64:65], v[64:65], v[108:109]
	v_fma_f64 v[64:65], v[66:67], v[106:107], v[64:65]
	s_waitcnt lgkmcnt(13)
	v_mul_f64 v[66:67], v[62:63], v[100:101]
	v_fma_f64 v[66:67], v[60:61], v[98:99], -v[66:67]
	v_mul_f64 v[60:61], v[60:61], v[100:101]
	v_fma_f64 v[62:63], v[62:63], v[98:99], v[60:61]
	s_waitcnt lgkmcnt(12)
	v_mul_f64 v[60:61], v[58:59], v[96:97]
	v_fma_f64 v[60:61], v[56:57], v[94:95], -v[60:61]
	v_mul_f64 v[56:57], v[56:57], v[96:97]
	v_fma_f64 v[56:57], v[58:59], v[94:95], v[56:57]
	s_waitcnt lgkmcnt(11)
	v_mul_f64 v[58:59], v[54:55], v[92:93]
	v_fma_f64 v[58:59], v[52:53], v[90:91], -v[58:59]
	v_mul_f64 v[52:53], v[52:53], v[92:93]
	v_fma_f64 v[54:55], v[54:55], v[90:91], v[52:53]
	s_waitcnt vmcnt(0) lgkmcnt(10)
	v_mul_f64 v[52:53], v[50:51], v[86:87]
	v_fma_f64 v[52:53], v[48:49], v[84:85], -v[52:53]
	buffer_store_dword v84, off, s[36:39], 0 offset:804 ; 4-byte Folded Spill
	s_nop 0
	buffer_store_dword v85, off, s[36:39], 0 offset:808 ; 4-byte Folded Spill
	buffer_store_dword v86, off, s[36:39], 0 offset:812 ; 4-byte Folded Spill
	;; [unrolled: 1-line block ×3, first 2 shown]
	v_mul_f64 v[48:49], v[48:49], v[86:87]
	v_fma_f64 v[48:49], v[50:51], v[84:85], v[48:49]
	v_mul_u32_u24_sdwa v50, v180, s6 dst_sel:DWORD dst_unused:UNUSED_PAD src0_sel:WORD_0 src1_sel:DWORD
	v_lshrrev_b32_e32 v170, 17, v50
	v_mul_lo_u16_e32 v50, 3, v170
	v_sub_u16_e32 v175, v180, v50
	v_mul_lo_u16_e32 v50, 0x90, v175
	v_add_co_u32_e32 v50, vcc, s10, v50
	v_addc_co_u32_e32 v51, vcc, 0, v103, vcc
	global_load_dwordx4 v[92:95], v[50:51], off offset:48
	global_load_dwordx4 v[112:115], v[50:51], off offset:32
	;; [unrolled: 1-line block ×3, first 2 shown]
	global_load_dwordx4 v[116:119], v[50:51], off
	s_mov_b32 s6, 0x134454ff
	s_mov_b32 s7, 0x3fee6f0e
	;; [unrolled: 1-line block ×3, first 2 shown]
	s_waitcnt vmcnt(0) lgkmcnt(8)
	v_mul_f64 v[84:85], v[46:47], v[118:119]
	v_fma_f64 v[98:99], v[44:45], v[116:117], -v[84:85]
	buffer_store_dword v116, off, s[36:39], 0 offset:820 ; 4-byte Folded Spill
	s_nop 0
	buffer_store_dword v117, off, s[36:39], 0 offset:824 ; 4-byte Folded Spill
	buffer_store_dword v118, off, s[36:39], 0 offset:828 ; 4-byte Folded Spill
	buffer_store_dword v119, off, s[36:39], 0 offset:832 ; 4-byte Folded Spill
	buffer_store_dword v106, off, s[36:39], 0 offset:836 ; 4-byte Folded Spill
	s_nop 0
	buffer_store_dword v107, off, s[36:39], 0 offset:840 ; 4-byte Folded Spill
	buffer_store_dword v108, off, s[36:39], 0 offset:844 ; 4-byte Folded Spill
	buffer_store_dword v109, off, s[36:39], 0 offset:848 ; 4-byte Folded Spill
	;; [unrolled: 5-line block ×4, first 2 shown]
	v_mul_f64 v[44:45], v[44:45], v[118:119]
	v_fma_f64 v[84:85], v[46:47], v[116:117], v[44:45]
	s_waitcnt lgkmcnt(7)
	v_mul_f64 v[44:45], v[42:43], v[108:109]
	v_fma_f64 v[110:111], v[40:41], v[106:107], -v[44:45]
	v_mul_f64 v[40:41], v[40:41], v[108:109]
	v_fma_f64 v[106:107], v[42:43], v[106:107], v[40:41]
	s_waitcnt lgkmcnt(6)
	v_mul_f64 v[40:41], v[38:39], v[114:115]
	v_fma_f64 v[90:91], v[36:37], v[112:113], -v[40:41]
	;; [unrolled: 5-line block ×3, first 2 shown]
	v_mul_f64 v[32:33], v[32:33], v[94:95]
	v_fma_f64 v[108:109], v[34:35], v[92:93], v[32:33]
	global_load_dwordx4 v[34:37], v[50:51], off offset:112
	global_load_dwordx4 v[38:41], v[50:51], off offset:96
	;; [unrolled: 1-line block ×4, first 2 shown]
	s_waitcnt vmcnt(1)
	buffer_store_dword v42, off, s[36:39], 0 offset:948 ; 4-byte Folded Spill
	s_nop 0
	buffer_store_dword v43, off, s[36:39], 0 offset:952 ; 4-byte Folded Spill
	buffer_store_dword v44, off, s[36:39], 0 offset:956 ; 4-byte Folded Spill
	buffer_store_dword v45, off, s[36:39], 0 offset:960 ; 4-byte Folded Spill
	buffer_store_dword v38, off, s[36:39], 0 offset:964 ; 4-byte Folded Spill
	s_nop 0
	buffer_store_dword v39, off, s[36:39], 0 offset:968 ; 4-byte Folded Spill
	buffer_store_dword v40, off, s[36:39], 0 offset:972 ; 4-byte Folded Spill
	buffer_store_dword v41, off, s[36:39], 0 offset:976 ; 4-byte Folded Spill
	;; [unrolled: 5-line block ×3, first 2 shown]
	global_load_dwordx4 v[252:255], v[50:51], off offset:128
	s_waitcnt vmcnt(13) lgkmcnt(4)
	v_mul_f64 v[32:33], v[30:31], v[242:243]
	s_waitcnt vmcnt(0) lgkmcnt(0)
	s_barrier
	v_fma_f64 v[94:95], v[28:29], v[240:241], -v[32:33]
	v_mul_f64 v[28:29], v[28:29], v[242:243]
	v_fma_f64 v[92:93], v[30:31], v[240:241], v[28:29]
	v_mul_f64 v[28:29], v[26:27], v[44:45]
	v_fma_f64 v[118:119], v[24:25], v[42:43], -v[28:29]
	v_mul_f64 v[24:25], v[24:25], v[44:45]
	v_fma_f64 v[114:115], v[26:27], v[42:43], v[24:25]
	v_mul_f64 v[24:25], v[22:23], v[40:41]
	v_fma_f64 v[100:101], v[20:21], v[38:39], -v[24:25]
	v_mul_f64 v[20:21], v[20:21], v[40:41]
	v_add_f64 v[24:25], v[134:135], -v[148:149]
	v_fma_f64 v[96:97], v[22:23], v[38:39], v[20:21]
	v_mul_f64 v[20:21], v[18:19], v[36:37]
	v_add_f64 v[22:23], v[158:159], -v[156:157]
	v_fma_f64 v[120:121], v[16:17], v[34:35], -v[20:21]
	v_mul_f64 v[16:17], v[16:17], v[36:37]
	v_add_f64 v[20:21], v[144:145], -v[146:147]
	v_fma_f64 v[116:117], v[18:19], v[34:35], v[16:17]
	v_mul_f64 v[16:17], v[14:15], v[254:255]
	v_add_f64 v[18:19], v[142:143], -v[152:153]
	v_add_f64 v[20:21], v[20:21], v[22:23]
	v_add_f64 v[22:23], v[148:149], -v[134:135]
	v_fma_f64 v[160:161], v[12:13], v[252:253], -v[16:17]
	v_mul_f64 v[12:13], v[12:13], v[254:255]
	v_fma_f64 v[162:163], v[14:15], v[252:253], v[12:13]
	v_add_f64 v[12:13], v[8:9], v[144:145]
	v_add_f64 v[14:15], v[140:141], -v[154:155]
	v_add_f64 v[12:13], v[12:13], v[146:147]
	v_add_f64 v[12:13], v[12:13], v[156:157]
	;; [unrolled: 1-line block ×4, first 2 shown]
	v_fma_f64 v[12:13], v[12:13], -0.5, v[8:9]
	v_fma_f64 v[16:17], v[14:15], s[6:7], v[12:13]
	v_fma_f64 v[12:13], v[14:15], s[16:17], v[12:13]
	;; [unrolled: 1-line block ×6, first 2 shown]
	v_add_f64 v[12:13], v[144:145], v[158:159]
	v_add_f64 v[16:17], v[146:147], -v[144:145]
	v_add_f64 v[20:21], v[156:157], -v[158:159]
	v_fma_f64 v[8:9], v[12:13], -0.5, v[8:9]
	v_add_f64 v[16:17], v[16:17], v[20:21]
	v_add_f64 v[20:21], v[154:155], -v[152:153]
	v_fma_f64 v[12:13], v[18:19], s[16:17], v[8:9]
	v_fma_f64 v[8:9], v[18:19], s[6:7], v[8:9]
	v_add_f64 v[18:19], v[140:141], -v[142:143]
	v_fma_f64 v[12:13], v[14:15], s[8:9], v[12:13]
	v_fma_f64 v[8:9], v[14:15], s[18:19], v[8:9]
	v_add_f64 v[18:19], v[18:19], v[20:21]
	v_add_f64 v[20:21], v[138:139], -v[150:151]
	v_fma_f64 v[36:37], v[16:17], s[14:15], v[12:13]
	v_fma_f64 v[46:47], v[16:17], s[14:15], v[8:9]
	v_add_f64 v[8:9], v[10:11], v[140:141]
	v_add_f64 v[12:13], v[144:145], -v[158:159]
	v_add_f64 v[16:17], v[146:147], -v[156:157]
	v_add_f64 v[8:9], v[8:9], v[142:143]
	v_add_f64 v[8:9], v[8:9], v[152:153]
	;; [unrolled: 1-line block ×4, first 2 shown]
	v_fma_f64 v[8:9], v[8:9], -0.5, v[10:11]
	v_fma_f64 v[14:15], v[12:13], s[16:17], v[8:9]
	v_fma_f64 v[8:9], v[12:13], s[6:7], v[8:9]
	;; [unrolled: 1-line block ×6, first 2 shown]
	v_add_f64 v[8:9], v[140:141], v[154:155]
	v_add_f64 v[14:15], v[142:143], -v[140:141]
	v_add_f64 v[18:19], v[152:153], -v[154:155]
	v_fma_f64 v[8:9], v[8:9], -0.5, v[10:11]
	v_add_f64 v[14:15], v[14:15], v[18:19]
	v_add_f64 v[18:19], v[150:151], -v[138:139]
	v_fma_f64 v[10:11], v[16:17], s[6:7], v[8:9]
	v_fma_f64 v[8:9], v[16:17], s[16:17], v[8:9]
	v_add_f64 v[16:17], v[128:129], -v[136:137]
	v_fma_f64 v[10:11], v[12:13], s[18:19], v[10:11]
	v_fma_f64 v[8:9], v[12:13], s[8:9], v[8:9]
	v_add_f64 v[16:17], v[16:17], v[18:19]
	v_fma_f64 v[38:39], v[14:15], s[14:15], v[10:11]
	v_fma_f64 v[34:35], v[14:15], s[14:15], v[8:9]
	v_add_f64 v[8:9], v[130:131], v[128:129]
	v_add_f64 v[10:11], v[126:127], -v[148:149]
	v_add_f64 v[14:15], v[132:133], -v[134:135]
	v_add_f64 v[8:9], v[8:9], v[136:137]
	v_add_f64 v[8:9], v[8:9], v[138:139]
	;; [unrolled: 1-line block ×4, first 2 shown]
	v_fma_f64 v[8:9], v[8:9], -0.5, v[130:131]
	v_fma_f64 v[12:13], v[10:11], s[6:7], v[8:9]
	v_fma_f64 v[8:9], v[10:11], s[16:17], v[8:9]
	;; [unrolled: 1-line block ×6, first 2 shown]
	v_add_f64 v[8:9], v[128:129], v[150:151]
	v_add_f64 v[16:17], v[136:137], -v[128:129]
	v_fma_f64 v[8:9], v[8:9], -0.5, v[130:131]
	v_add_f64 v[16:17], v[16:17], v[20:21]
	v_add_f64 v[20:21], v[126:127], -v[132:133]
	v_fma_f64 v[12:13], v[14:15], s[16:17], v[8:9]
	v_fma_f64 v[8:9], v[14:15], s[6:7], v[8:9]
	v_add_f64 v[20:21], v[20:21], v[22:23]
	v_add_f64 v[22:23], v[132:133], -v[126:127]
	v_fma_f64 v[12:13], v[10:11], s[8:9], v[12:13]
	v_fma_f64 v[8:9], v[10:11], s[18:19], v[8:9]
	v_add_f64 v[22:23], v[22:23], v[24:25]
	v_add_f64 v[24:25], v[28:29], v[40:41]
	v_fma_f64 v[130:131], v[16:17], s[14:15], v[12:13]
	v_fma_f64 v[10:11], v[16:17], s[14:15], v[8:9]
	v_add_f64 v[8:9], v[124:125], v[126:127]
	v_add_f64 v[12:13], v[128:129], -v[150:151]
	v_add_f64 v[16:17], v[136:137], -v[138:139]
	v_add_f64 v[8:9], v[8:9], v[132:133]
	v_add_f64 v[8:9], v[8:9], v[134:135]
	;; [unrolled: 1-line block ×5, first 2 shown]
	v_fma_f64 v[8:9], v[8:9], -0.5, v[124:125]
	v_fma_f64 v[14:15], v[12:13], s[16:17], v[8:9]
	v_fma_f64 v[8:9], v[12:13], s[6:7], v[8:9]
	;; [unrolled: 1-line block ×6, first 2 shown]
	v_add_f64 v[8:9], v[126:127], v[148:149]
	v_fma_f64 v[8:9], v[8:9], -0.5, v[124:125]
	v_fma_f64 v[20:21], v[16:17], s[6:7], v[8:9]
	v_fma_f64 v[8:9], v[16:17], s[16:17], v[8:9]
	;; [unrolled: 1-line block ×6, first 2 shown]
	v_mul_f64 v[8:9], v[14:15], s[8:9]
	v_fma_f64 v[132:133], v[18:19], s[20:21], v[8:9]
	v_mul_f64 v[18:19], v[18:19], s[18:19]
	v_mul_f64 v[8:9], v[124:125], s[6:7]
	v_add_f64 v[20:21], v[32:33], v[132:133]
	v_fma_f64 v[142:143], v[14:15], s[20:21], v[18:19]
	v_mul_f64 v[14:15], v[130:131], s[16:17]
	v_fma_f64 v[134:135], v[130:131], s[14:15], v[8:9]
	v_mul_f64 v[8:9], v[10:11], s[22:23]
	v_add_f64 v[130:131], v[70:71], -v[62:63]
	v_add_f64 v[22:23], v[144:145], v[142:143]
	v_fma_f64 v[124:125], v[124:125], s[14:15], v[14:15]
	v_mul_f64 v[14:15], v[126:127], s[22:23]
	v_fma_f64 v[136:137], v[126:127], s[6:7], v[8:9]
	v_mul_f64 v[8:9], v[44:45], s[24:25]
	v_add_f64 v[16:17], v[36:37], v[134:135]
	v_add_f64 v[36:37], v[36:37], -v[134:135]
	v_add_f64 v[134:135], v[58:59], -v[66:67]
	v_add_f64 v[18:19], v[38:39], v[124:125]
	v_fma_f64 v[126:127], v[10:11], s[16:17], v[14:15]
	v_mul_f64 v[10:11], v[128:129], s[24:25]
	v_add_f64 v[12:13], v[46:47], v[136:137]
	v_fma_f64 v[138:139], v[128:129], s[8:9], v[8:9]
	v_add_f64 v[38:39], v[38:39], -v[124:125]
	v_add_f64 v[14:15], v[34:35], v[126:127]
	v_fma_f64 v[128:129], v[44:45], s[18:19], v[10:11]
	v_add_f64 v[44:45], v[28:29], -v[40:41]
	v_add_f64 v[40:41], v[32:33], -v[132:133]
	;; [unrolled: 1-line block ×4, first 2 shown]
	v_add_f64 v[50:51], v[4:5], v[82:83]
	v_add_f64 v[34:35], v[34:35], -v[126:127]
	v_add_f64 v[126:127], v[78:79], -v[54:55]
	v_add_f64 v[10:11], v[30:31], v[128:129]
	v_add_f64 v[30:31], v[30:31], -v[128:129]
	v_add_f64 v[132:133], v[82:83], -v[74:75]
	;; [unrolled: 1-line block ×3, first 2 shown]
	v_add_f64 v[8:9], v[42:43], v[138:139]
	v_add_f64 v[50:51], v[50:51], v[74:75]
	v_add_f64 v[28:29], v[42:43], -v[138:139]
	v_add_f64 v[42:43], v[144:145], -v[142:143]
	v_add_f64 v[132:133], v[132:133], v[134:135]
	v_add_f64 v[134:135], v[74:75], -v[82:83]
	v_add_f64 v[50:51], v[50:51], v[66:67]
	v_add_f64 v[134:135], v[134:135], v[136:137]
	;; [unrolled: 1-line block ×4, first 2 shown]
	v_add_f64 v[74:75], v[74:75], -v[66:67]
	v_add_f64 v[66:67], v[78:79], -v[70:71]
	v_fma_f64 v[50:51], v[50:51], -0.5, v[4:5]
	v_fma_f64 v[128:129], v[126:127], s[6:7], v[50:51]
	v_fma_f64 v[50:51], v[126:127], s[16:17], v[50:51]
	;; [unrolled: 1-line block ×6, first 2 shown]
	v_add_f64 v[50:51], v[82:83], v[58:59]
	v_fma_f64 v[4:5], v[50:51], -0.5, v[4:5]
	v_fma_f64 v[50:51], v[130:131], s[16:17], v[4:5]
	v_fma_f64 v[4:5], v[130:131], s[6:7], v[4:5]
	;; [unrolled: 1-line block ×6, first 2 shown]
	v_add_f64 v[4:5], v[6:7], v[78:79]
	v_add_f64 v[50:51], v[82:83], -v[58:59]
	v_add_f64 v[82:83], v[54:55], -v[62:63]
	v_add_f64 v[4:5], v[4:5], v[70:71]
	v_add_f64 v[66:67], v[66:67], v[82:83]
	v_add_f64 v[82:83], v[60:61], -v[52:53]
	v_add_f64 v[4:5], v[4:5], v[62:63]
	v_add_f64 v[130:131], v[4:5], v[54:55]
	;; [unrolled: 1-line block ×3, first 2 shown]
	v_fma_f64 v[4:5], v[4:5], -0.5, v[6:7]
	v_fma_f64 v[58:59], v[50:51], s[16:17], v[4:5]
	v_fma_f64 v[4:5], v[50:51], s[6:7], v[4:5]
	v_fma_f64 v[58:59], v[74:75], s[18:19], v[58:59]
	v_fma_f64 v[4:5], v[74:75], s[8:9], v[4:5]
	v_fma_f64 v[134:135], v[66:67], s[14:15], v[58:59]
	v_fma_f64 v[66:67], v[66:67], s[14:15], v[4:5]
	v_add_f64 v[4:5], v[78:79], v[54:55]
	v_add_f64 v[58:59], v[70:71], -v[78:79]
	v_add_f64 v[54:55], v[62:63], -v[54:55]
	;; [unrolled: 1-line block ×3, first 2 shown]
	v_fma_f64 v[4:5], v[4:5], -0.5, v[6:7]
	v_add_f64 v[54:55], v[58:59], v[54:55]
	v_add_f64 v[58:59], v[76:77], -v[68:69]
	v_fma_f64 v[6:7], v[74:75], s[6:7], v[4:5]
	v_fma_f64 v[4:5], v[74:75], s[16:17], v[4:5]
	v_add_f64 v[58:59], v[58:59], v[62:63]
	v_add_f64 v[62:63], v[68:69], -v[76:77]
	v_fma_f64 v[6:7], v[50:51], s[18:19], v[6:7]
	v_fma_f64 v[4:5], v[50:51], s[8:9], v[4:5]
	v_add_f64 v[62:63], v[62:63], v[82:83]
	v_fma_f64 v[138:139], v[54:55], s[14:15], v[6:7]
	v_fma_f64 v[70:71], v[54:55], s[14:15], v[4:5]
	v_add_f64 v[4:5], v[122:123], v[76:77]
	v_add_f64 v[6:7], v[72:73], -v[48:49]
	v_add_f64 v[54:55], v[64:65], -v[56:57]
	v_add_f64 v[4:5], v[4:5], v[68:69]
	v_add_f64 v[4:5], v[4:5], v[60:61]
	;; [unrolled: 1-line block ×4, first 2 shown]
	v_fma_f64 v[4:5], v[4:5], -0.5, v[122:123]
	v_fma_f64 v[50:51], v[6:7], s[6:7], v[4:5]
	v_fma_f64 v[4:5], v[6:7], s[16:17], v[4:5]
	;; [unrolled: 1-line block ×6, first 2 shown]
	v_add_f64 v[4:5], v[76:77], v[52:53]
	v_add_f64 v[52:53], v[76:77], -v[52:53]
	v_fma_f64 v[4:5], v[4:5], -0.5, v[122:123]
	v_fma_f64 v[58:59], v[54:55], s[16:17], v[4:5]
	v_fma_f64 v[4:5], v[54:55], s[6:7], v[4:5]
	;; [unrolled: 1-line block ×6, first 2 shown]
	v_add_f64 v[4:5], v[80:81], v[72:73]
	v_add_f64 v[58:59], v[68:69], -v[60:61]
	v_add_f64 v[60:61], v[72:73], -v[64:65]
	;; [unrolled: 1-line block ×3, first 2 shown]
	v_add_f64 v[4:5], v[4:5], v[64:65]
	v_add_f64 v[60:61], v[60:61], v[62:63]
	v_add_f64 v[62:63], v[64:65], -v[72:73]
	v_add_f64 v[4:5], v[4:5], v[56:57]
	v_add_f64 v[122:123], v[4:5], v[48:49]
	v_add_f64 v[4:5], v[64:65], v[56:57]
	v_fma_f64 v[4:5], v[4:5], -0.5, v[80:81]
	v_fma_f64 v[54:55], v[52:53], s[16:17], v[4:5]
	v_fma_f64 v[4:5], v[52:53], s[6:7], v[4:5]
	;; [unrolled: 1-line block ×6, first 2 shown]
	v_add_f64 v[4:5], v[72:73], v[48:49]
	v_add_f64 v[48:49], v[56:57], -v[48:49]
	v_fma_f64 v[4:5], v[4:5], -0.5, v[80:81]
	v_add_f64 v[48:49], v[62:63], v[48:49]
	v_add_f64 v[80:81], v[124:125], -v[74:75]
	v_add_f64 v[62:63], v[130:131], v[122:123]
	v_fma_f64 v[60:61], v[58:59], s[6:7], v[4:5]
	v_fma_f64 v[4:5], v[58:59], s[16:17], v[4:5]
	;; [unrolled: 1-line block ×6, first 2 shown]
	v_mul_f64 v[4:5], v[54:55], s[8:9]
	v_add_f64 v[60:61], v[124:125], v[74:75]
	v_add_f64 v[124:125], v[112:113], v[118:119]
	v_fma_f64 v[76:77], v[50:51], s[20:21], v[4:5]
	v_mul_f64 v[4:5], v[64:65], s[6:7]
	v_mul_f64 v[50:51], v[50:51], s[18:19]
	v_fma_f64 v[124:125], v[124:125], -0.5, v[0:1]
	v_add_f64 v[56:57], v[128:129], v[76:77]
	v_fma_f64 v[140:141], v[82:83], s[14:15], v[4:5]
	v_mul_f64 v[4:5], v[6:7], s[22:23]
	v_fma_f64 v[146:147], v[54:55], s[20:21], v[50:51]
	v_mul_f64 v[50:51], v[82:83], s[16:17]
	v_add_f64 v[76:77], v[128:129], -v[76:77]
	v_add_f64 v[82:83], v[130:131], -v[122:123]
	;; [unrolled: 1-line block ×3, first 2 shown]
	v_add_f64 v[122:123], v[0:1], v[110:111]
	v_add_f64 v[52:53], v[136:137], v[140:141]
	v_fma_f64 v[142:143], v[72:73], s[6:7], v[4:5]
	v_mul_f64 v[4:5], v[78:79], s[24:25]
	v_fma_f64 v[148:149], v[64:65], s[14:15], v[50:51]
	v_mul_f64 v[50:51], v[72:73], s[22:23]
	v_add_f64 v[58:59], v[134:135], v[146:147]
	v_add_f64 v[72:73], v[136:137], -v[140:141]
	v_add_f64 v[136:137], v[118:119], -v[120:121]
	v_add_f64 v[122:123], v[122:123], v[112:113]
	v_add_f64 v[48:49], v[126:127], v[142:143]
	v_fma_f64 v[144:145], v[68:69], s[8:9], v[4:5]
	v_add_f64 v[54:55], v[138:139], v[148:149]
	v_fma_f64 v[150:151], v[6:7], s[16:17], v[50:51]
	v_mul_f64 v[6:7], v[68:69], s[24:25]
	v_add_f64 v[68:69], v[126:127], -v[142:143]
	v_add_f64 v[126:127], v[106:107], -v[116:117]
	v_add_f64 v[122:123], v[122:123], v[118:119]
	v_add_f64 v[74:75], v[138:139], -v[148:149]
	v_add_f64 v[4:5], v[132:133], v[144:145]
	v_add_f64 v[64:65], v[132:133], -v[144:145]
	v_add_f64 v[132:133], v[110:111], -v[112:113]
	v_fma_f64 v[152:153], v[78:79], s[18:19], v[6:7]
	v_add_f64 v[78:79], v[134:135], -v[146:147]
	v_fma_f64 v[128:129], v[126:127], s[6:7], v[124:125]
	;; [unrolled: 2-line block ×3, first 2 shown]
	v_add_f64 v[122:123], v[122:123], v[120:121]
	v_add_f64 v[50:51], v[70:71], v[150:151]
	v_add_f64 v[70:71], v[70:71], -v[150:151]
	v_add_f64 v[6:7], v[66:67], v[152:153]
	v_add_f64 v[66:67], v[66:67], -v[152:153]
	v_fma_f64 v[128:129], v[130:131], s[8:9], v[128:129]
	v_add_f64 v[132:133], v[132:133], v[134:135]
	v_fma_f64 v[124:125], v[130:131], s[18:19], v[124:125]
	v_add_f64 v[134:135], v[112:113], -v[110:111]
	v_add_f64 v[112:113], v[112:113], -v[118:119]
	v_fma_f64 v[128:129], v[132:133], s[14:15], v[128:129]
	v_fma_f64 v[124:125], v[132:133], s[14:15], v[124:125]
	v_add_f64 v[132:133], v[110:111], v[120:121]
	v_add_f64 v[134:135], v[134:135], v[136:137]
	v_add_f64 v[110:111], v[110:111], -v[120:121]
	v_fma_f64 v[0:1], v[132:133], -0.5, v[0:1]
	v_fma_f64 v[132:133], v[130:131], s[16:17], v[0:1]
	v_fma_f64 v[0:1], v[130:131], s[6:7], v[0:1]
	v_add_f64 v[130:131], v[116:117], -v[114:115]
	v_fma_f64 v[132:133], v[126:127], s[8:9], v[132:133]
	v_fma_f64 v[0:1], v[126:127], s[18:19], v[0:1]
	;; [unrolled: 1-line block ×4, first 2 shown]
	v_add_f64 v[0:1], v[2:3], v[106:107]
	v_add_f64 v[0:1], v[0:1], v[108:109]
	;; [unrolled: 1-line block ×5, first 2 shown]
	v_fma_f64 v[0:1], v[0:1], -0.5, v[2:3]
	v_fma_f64 v[120:121], v[110:111], s[16:17], v[0:1]
	v_fma_f64 v[0:1], v[110:111], s[6:7], v[0:1]
	;; [unrolled: 1-line block ×3, first 2 shown]
	v_add_f64 v[120:121], v[106:107], -v[108:109]
	v_fma_f64 v[0:1], v[112:113], s[8:9], v[0:1]
	v_add_f64 v[120:121], v[120:121], v[130:131]
	v_add_f64 v[130:131], v[100:101], -v[160:161]
	v_fma_f64 v[136:137], v[120:121], s[14:15], v[118:119]
	v_add_f64 v[118:119], v[106:107], v[116:117]
	v_add_f64 v[106:107], v[108:109], -v[106:107]
	v_add_f64 v[108:109], v[114:115], -v[116:117]
	v_fma_f64 v[0:1], v[120:121], s[14:15], v[0:1]
	v_add_f64 v[114:115], v[92:93], -v[96:97]
	v_add_f64 v[116:117], v[90:91], -v[94:95]
	v_fma_f64 v[2:3], v[118:119], -0.5, v[2:3]
	v_add_f64 v[106:107], v[106:107], v[108:109]
	v_add_f64 v[108:109], v[86:87], -v[162:163]
	v_fma_f64 v[118:119], v[112:113], s[6:7], v[2:3]
	v_fma_f64 v[2:3], v[112:113], s[16:17], v[2:3]
	;; [unrolled: 1-line block ×6, first 2 shown]
	v_add_f64 v[106:107], v[98:99], v[90:91]
	v_add_f64 v[118:119], v[160:161], -v[100:101]
	v_add_f64 v[106:107], v[106:107], v[94:95]
	v_add_f64 v[116:117], v[116:117], v[118:119]
	v_add_f64 v[118:119], v[94:95], -v[90:91]
	v_add_f64 v[106:107], v[106:107], v[100:101]
	v_add_f64 v[118:119], v[118:119], v[130:131]
	;; [unrolled: 1-line block ×4, first 2 shown]
	v_add_f64 v[94:95], v[94:95], -v[100:101]
	v_fma_f64 v[106:107], v[106:107], -0.5, v[98:99]
	v_fma_f64 v[112:113], v[108:109], s[6:7], v[106:107]
	v_fma_f64 v[106:107], v[108:109], s[16:17], v[106:107]
	;; [unrolled: 1-line block ×6, first 2 shown]
	v_add_f64 v[106:107], v[90:91], v[160:161]
	v_add_f64 v[90:91], v[90:91], -v[160:161]
	v_fma_f64 v[98:99], v[106:107], -0.5, v[98:99]
	v_fma_f64 v[106:107], v[114:115], s[16:17], v[98:99]
	v_fma_f64 v[98:99], v[114:115], s[6:7], v[98:99]
	v_add_f64 v[114:115], v[162:163], -v[96:97]
	v_fma_f64 v[106:107], v[108:109], s[8:9], v[106:107]
	v_fma_f64 v[98:99], v[108:109], s[18:19], v[98:99]
	;; [unrolled: 1-line block ×4, first 2 shown]
	v_add_f64 v[98:99], v[84:85], v[86:87]
	v_add_f64 v[98:99], v[98:99], v[92:93]
	v_add_f64 v[98:99], v[98:99], v[96:97]
	v_add_f64 v[138:139], v[98:99], v[162:163]
	v_add_f64 v[98:99], v[92:93], v[96:97]
	v_fma_f64 v[98:99], v[98:99], -0.5, v[84:85]
	v_fma_f64 v[106:107], v[90:91], s[16:17], v[98:99]
	v_fma_f64 v[98:99], v[90:91], s[6:7], v[98:99]
	v_fma_f64 v[100:101], v[94:95], s[18:19], v[106:107]
	v_add_f64 v[106:107], v[86:87], -v[92:93]
	v_fma_f64 v[98:99], v[94:95], s[8:9], v[98:99]
	v_add_f64 v[106:107], v[106:107], v[114:115]
	v_fma_f64 v[114:115], v[106:107], s[14:15], v[98:99]
	v_add_f64 v[98:99], v[86:87], v[162:163]
	v_add_f64 v[86:87], v[92:93], -v[86:87]
	v_add_f64 v[92:93], v[96:97], -v[162:163]
	v_fma_f64 v[100:101], v[106:107], s[14:15], v[100:101]
	v_fma_f64 v[84:85], v[98:99], -0.5, v[84:85]
	v_add_f64 v[86:87], v[86:87], v[92:93]
	v_mul_f64 v[92:93], v[112:113], s[18:19]
	v_fma_f64 v[98:99], v[94:95], s[6:7], v[84:85]
	v_fma_f64 v[84:85], v[94:95], s[16:17], v[84:85]
	;; [unrolled: 1-line block ×5, first 2 shown]
	v_add_f64 v[92:93], v[136:137], v[148:149]
	v_fma_f64 v[96:97], v[86:87], s[14:15], v[98:99]
	v_fma_f64 v[118:119], v[86:87], s[14:15], v[84:85]
	v_mul_f64 v[86:87], v[100:101], s[8:9]
	v_mul_f64 v[100:101], v[130:131], s[16:17]
	v_add_f64 v[84:85], v[122:123], v[110:111]
	v_add_f64 v[110:111], v[122:123], -v[110:111]
	v_fma_f64 v[140:141], v[112:113], s[20:21], v[86:87]
	v_mul_f64 v[86:87], v[96:97], s[6:7]
	v_fma_f64 v[150:151], v[96:97], s[14:15], v[100:101]
	v_mul_f64 v[100:101], v[118:119], s[22:23]
	v_add_f64 v[112:113], v[134:135], -v[138:139]
	v_add_f64 v[90:91], v[128:129], v[140:141]
	v_fma_f64 v[142:143], v[130:131], s[14:15], v[86:87]
	v_mul_f64 v[86:87], v[108:109], s[22:23]
	v_fma_f64 v[152:153], v[108:109], s[16:17], v[100:101]
	v_mul_f64 v[108:109], v[114:115], s[24:25]
	v_add_f64 v[96:97], v[120:121], v[150:151]
	v_add_f64 v[120:121], v[120:121], -v[150:151]
	v_mov_b32_e32 v130, v173
	v_add_f64 v[94:95], v[132:133], v[142:143]
	v_fma_f64 v[144:145], v[118:119], s[6:7], v[86:87]
	v_mul_f64 v[86:87], v[116:117], s[24:25]
	v_fma_f64 v[154:155], v[116:117], s[18:19], v[108:109]
	v_add_f64 v[100:101], v[2:3], v[152:153]
	v_add_f64 v[118:119], v[132:133], -v[142:143]
	v_add_f64 v[116:117], v[136:137], -v[148:149]
	v_add_f64 v[98:99], v[126:127], v[144:145]
	v_fma_f64 v[146:147], v[114:115], s[8:9], v[86:87]
	v_add_f64 v[86:87], v[134:135], v[138:139]
	v_add_f64 v[108:109], v[0:1], v[154:155]
	v_add_f64 v[133:134], v[0:1], -v[154:155]
	v_mul_u32_u24_e32 v0, 30, v102
	v_add_lshl_u32 v167, v0, v164, 4
	v_mul_u32_u24_e32 v0, 30, v165
	v_add_f64 v[114:115], v[128:129], -v[140:141]
	v_add_f64 v[106:107], v[124:125], v[146:147]
	v_add_lshl_u32 v172, v0, v169, 4
	v_mad_legacy_u16 v0, v170, 30, v175
	v_mul_lo_u16_sdwa v102, v173, s11 dst_sel:DWORD dst_unused:UNUSED_PAD src0_sel:BYTE_0 src1_sel:DWORD
	v_add_f64 v[122:123], v[126:127], -v[144:145]
	v_lshlrev_b32_e32 v168, 4, v0
	v_lshrrev_b16_e32 v102, 12, v102
	v_add_f64 v[131:132], v[124:125], -v[146:147]
	v_add_f64 v[124:125], v[2:3], -v[152:153]
	ds_write_b128 v167, v[24:27]
	ds_write_b128 v167, v[20:23] offset:48
	ds_write_b128 v167, v[16:19] offset:96
	ds_write_b128 v167, v[12:15] offset:144
	ds_write_b128 v167, v[8:11] offset:192
	ds_write_b128 v167, v[44:47] offset:240
	ds_write_b128 v167, v[40:43] offset:288
	ds_write_b128 v167, v[36:39] offset:336
	ds_write_b128 v167, v[32:35] offset:384
	ds_write_b128 v167, v[28:31] offset:432
	ds_write_b128 v172, v[60:63]
	ds_write_b128 v172, v[56:59] offset:48
	ds_write_b128 v172, v[52:55] offset:96
	ds_write_b128 v172, v[48:51] offset:144
	ds_write_b128 v172, v[4:7] offset:192
	ds_write_b128 v172, v[80:83] offset:240
	ds_write_b128 v172, v[76:79] offset:288
	ds_write_b128 v172, v[72:75] offset:336
	ds_write_b128 v172, v[68:71] offset:384
	ds_write_b128 v172, v[64:67] offset:432
	;; [unrolled: 10-line block ×3, first 2 shown]
	v_mul_lo_u16_e32 v122, 30, v102
	v_sub_u16_e32 v122, v173, v122
	v_and_b32_e32 v131, 0xff, v122
	v_mad_u64_u32 v[128:129], s[30:31], v131, s29, v[88:89]
	s_waitcnt lgkmcnt(0)
	s_barrier
	ds_read_b128 v[4:7], v104
	ds_read_b128 v[84:87], v104 offset:4320
	ds_read_b128 v[90:93], v104 offset:8640
	;; [unrolled: 1-line block ×29, first 2 shown]
	global_load_dwordx4 v[132:135], v[128:129], off offset:480
	global_load_dwordx4 v[124:127], v[128:129], off offset:464
	;; [unrolled: 1-line block ×4, first 2 shown]
	s_waitcnt vmcnt(0) lgkmcnt(14)
	v_mul_f64 v[122:123], v[86:87], v[150:151]
	v_fma_f64 v[136:137], v[84:85], v[148:149], -v[122:123]
	buffer_store_dword v148, off, s[36:39], 0 offset:884 ; 4-byte Folded Spill
	s_nop 0
	buffer_store_dword v149, off, s[36:39], 0 offset:888 ; 4-byte Folded Spill
	buffer_store_dword v150, off, s[36:39], 0 offset:892 ; 4-byte Folded Spill
	;; [unrolled: 1-line block ×4, first 2 shown]
	s_nop 0
	buffer_store_dword v145, off, s[36:39], 0 offset:904 ; 4-byte Folded Spill
	buffer_store_dword v146, off, s[36:39], 0 offset:908 ; 4-byte Folded Spill
	;; [unrolled: 1-line block ×3, first 2 shown]
	v_mul_f64 v[84:85], v[84:85], v[150:151]
	v_fma_f64 v[122:123], v[86:87], v[148:149], v[84:85]
	v_mul_f64 v[84:85], v[92:93], v[146:147]
	v_fma_f64 v[158:159], v[90:91], v[144:145], -v[84:85]
	v_mul_f64 v[84:85], v[90:91], v[146:147]
	v_fma_f64 v[150:151], v[92:93], v[144:145], v[84:85]
	v_mov_b32_e32 v90, v124
	v_mov_b32_e32 v91, v125
	;; [unrolled: 1-line block ×4, first 2 shown]
	buffer_store_dword v90, off, s[36:39], 0 offset:916 ; 4-byte Folded Spill
	s_nop 0
	buffer_store_dword v91, off, s[36:39], 0 offset:920 ; 4-byte Folded Spill
	buffer_store_dword v92, off, s[36:39], 0 offset:924 ; 4-byte Folded Spill
	buffer_store_dword v93, off, s[36:39], 0 offset:928 ; 4-byte Folded Spill
	buffer_store_dword v132, off, s[36:39], 0 offset:932 ; 4-byte Folded Spill
	s_nop 0
	buffer_store_dword v133, off, s[36:39], 0 offset:936 ; 4-byte Folded Spill
	buffer_store_dword v134, off, s[36:39], 0 offset:940 ; 4-byte Folded Spill
	;; [unrolled: 1-line block ×3, first 2 shown]
	v_mul_f64 v[84:85], v[96:97], v[92:93]
	v_fma_f64 v[126:127], v[94:95], v[90:91], -v[84:85]
	v_mul_f64 v[84:85], v[94:95], v[92:93]
	v_fma_f64 v[124:125], v[96:97], v[90:91], v[84:85]
	v_mul_f64 v[84:85], v[100:101], v[134:135]
	v_fma_f64 v[160:161], v[98:99], v[132:133], -v[84:85]
	v_mul_f64 v[84:85], v[98:99], v[134:135]
	v_fma_f64 v[156:157], v[100:101], v[132:133], v[84:85]
	global_load_dwordx4 v[90:93], v[128:129], off offset:544
	global_load_dwordx4 v[94:97], v[128:129], off offset:528
	;; [unrolled: 1-line block ×4, first 2 shown]
	s_waitcnt vmcnt(0)
	buffer_store_dword v144, off, s[36:39], 0 offset:996 ; 4-byte Folded Spill
	s_nop 0
	buffer_store_dword v145, off, s[36:39], 0 offset:1000 ; 4-byte Folded Spill
	buffer_store_dword v146, off, s[36:39], 0 offset:1004 ; 4-byte Folded Spill
	buffer_store_dword v147, off, s[36:39], 0 offset:1008 ; 4-byte Folded Spill
	buffer_store_dword v98, off, s[36:39], 0 offset:1012 ; 4-byte Folded Spill
	s_nop 0
	buffer_store_dword v99, off, s[36:39], 0 offset:1016 ; 4-byte Folded Spill
	buffer_store_dword v100, off, s[36:39], 0 offset:1020 ; 4-byte Folded Spill
	buffer_store_dword v101, off, s[36:39], 0 offset:1024 ; 4-byte Folded Spill
	;; [unrolled: 5-line block ×4, first 2 shown]
	v_mul_f64 v[84:85], v[108:109], v[146:147]
	v_fma_f64 v[134:135], v[106:107], v[144:145], -v[84:85]
	v_mul_f64 v[84:85], v[106:107], v[146:147]
	v_fma_f64 v[132:133], v[108:109], v[144:145], v[84:85]
	v_mul_f64 v[84:85], v[112:113], v[100:101]
	v_fma_f64 v[152:153], v[110:111], v[98:99], -v[84:85]
	v_mul_f64 v[84:85], v[110:111], v[100:101]
	v_fma_f64 v[162:163], v[112:113], v[98:99], v[84:85]
	;; [unrolled: 4-line block ×4, first 2 shown]
	global_load_dwordx4 v[90:93], v[128:129], off offset:560
	s_waitcnt vmcnt(0)
	buffer_store_dword v90, off, s[36:39], 0 offset:1044 ; 4-byte Folded Spill
	s_nop 0
	buffer_store_dword v91, off, s[36:39], 0 offset:1048 ; 4-byte Folded Spill
	buffer_store_dword v92, off, s[36:39], 0 offset:1052 ; 4-byte Folded Spill
	buffer_store_dword v93, off, s[36:39], 0 offset:1056 ; 4-byte Folded Spill
	v_mul_f64 v[84:85], v[142:143], v[92:93]
	v_fma_f64 v[148:149], v[140:141], v[90:91], -v[84:85]
	v_mul_f64 v[84:85], v[140:141], v[92:93]
	v_fma_f64 v[146:147], v[142:143], v[90:91], v[84:85]
	v_mul_lo_u16_sdwa v84, v105, s11 dst_sel:DWORD dst_unused:UNUSED_PAD src0_sel:BYTE_0 src1_sel:DWORD
	v_lshrrev_b16_e32 v175, 12, v84
	v_mul_lo_u16_e32 v84, 30, v175
	v_sub_u16_e32 v84, v105, v84
	v_and_b32_e32 v176, 0xff, v84
	v_mad_u64_u32 v[84:85], s[30:31], v176, s29, v[88:89]
	global_load_dwordx4 v[88:91], v[84:85], off offset:480
	global_load_dwordx4 v[92:95], v[84:85], off offset:464
	;; [unrolled: 1-line block ×4, first 2 shown]
	s_mov_b32 s11, 0x8889
	s_movk_i32 s29, 0xffe2
	s_waitcnt vmcnt(0)
	v_mul_f64 v[86:87], v[82:83], v[108:109]
	v_fma_f64 v[120:121], v[80:81], v[106:107], -v[86:87]
	buffer_store_dword v106, off, s[36:39], 0 offset:1076 ; 4-byte Folded Spill
	s_nop 0
	buffer_store_dword v107, off, s[36:39], 0 offset:1080 ; 4-byte Folded Spill
	buffer_store_dword v108, off, s[36:39], 0 offset:1084 ; 4-byte Folded Spill
	buffer_store_dword v109, off, s[36:39], 0 offset:1088 ; 4-byte Folded Spill
	buffer_store_dword v96, off, s[36:39], 0 offset:1092 ; 4-byte Folded Spill
	s_nop 0
	buffer_store_dword v97, off, s[36:39], 0 offset:1096 ; 4-byte Folded Spill
	buffer_store_dword v98, off, s[36:39], 0 offset:1100 ; 4-byte Folded Spill
	buffer_store_dword v99, off, s[36:39], 0 offset:1104 ; 4-byte Folded Spill
	;; [unrolled: 5-line block ×4, first 2 shown]
	v_mul_f64 v[80:81], v[80:81], v[108:109]
	v_fma_f64 v[80:81], v[82:83], v[106:107], v[80:81]
	v_mul_f64 v[82:83], v[78:79], v[98:99]
	v_fma_f64 v[82:83], v[76:77], v[96:97], -v[82:83]
	v_mul_f64 v[76:77], v[76:77], v[98:99]
	v_fma_f64 v[78:79], v[78:79], v[96:97], v[76:77]
	v_mul_f64 v[76:77], v[74:75], v[94:95]
	v_fma_f64 v[76:77], v[72:73], v[92:93], -v[76:77]
	;; [unrolled: 4-line block ×3, first 2 shown]
	v_mul_f64 v[68:69], v[68:69], v[90:91]
	v_fma_f64 v[70:71], v[70:71], v[88:89], v[68:69]
	global_load_dwordx4 v[86:89], v[84:85], off offset:544
	global_load_dwordx4 v[90:93], v[84:85], off offset:528
	;; [unrolled: 1-line block ×4, first 2 shown]
	s_waitcnt vmcnt(0)
	v_mul_f64 v[68:69], v[66:67], v[100:101]
	v_fma_f64 v[68:69], v[64:65], v[98:99], -v[68:69]
	buffer_store_dword v98, off, s[36:39], 0 offset:1140 ; 4-byte Folded Spill
	s_nop 0
	buffer_store_dword v99, off, s[36:39], 0 offset:1144 ; 4-byte Folded Spill
	buffer_store_dword v100, off, s[36:39], 0 offset:1148 ; 4-byte Folded Spill
	buffer_store_dword v101, off, s[36:39], 0 offset:1152 ; 4-byte Folded Spill
	buffer_store_dword v94, off, s[36:39], 0 offset:1156 ; 4-byte Folded Spill
	s_nop 0
	buffer_store_dword v95, off, s[36:39], 0 offset:1160 ; 4-byte Folded Spill
	buffer_store_dword v96, off, s[36:39], 0 offset:1164 ; 4-byte Folded Spill
	buffer_store_dword v97, off, s[36:39], 0 offset:1168 ; 4-byte Folded Spill
	;; [unrolled: 5-line block ×4, first 2 shown]
	v_mul_f64 v[64:65], v[64:65], v[100:101]
	v_fma_f64 v[64:65], v[66:67], v[98:99], v[64:65]
	s_waitcnt lgkmcnt(13)
	v_mul_f64 v[66:67], v[62:63], v[96:97]
	v_fma_f64 v[66:67], v[60:61], v[94:95], -v[66:67]
	v_mul_f64 v[60:61], v[60:61], v[96:97]
	v_fma_f64 v[62:63], v[62:63], v[94:95], v[60:61]
	s_waitcnt lgkmcnt(12)
	v_mul_f64 v[60:61], v[58:59], v[92:93]
	v_fma_f64 v[60:61], v[56:57], v[90:91], -v[60:61]
	;; [unrolled: 5-line block ×3, first 2 shown]
	v_mul_f64 v[52:53], v[52:53], v[88:89]
	v_fma_f64 v[54:55], v[54:55], v[86:87], v[52:53]
	global_load_dwordx4 v[84:87], v[84:85], off offset:560
	s_waitcnt vmcnt(0) lgkmcnt(10)
	v_mul_f64 v[52:53], v[50:51], v[86:87]
	v_fma_f64 v[52:53], v[48:49], v[84:85], -v[52:53]
	buffer_store_dword v84, off, s[36:39], 0 offset:1204 ; 4-byte Folded Spill
	s_nop 0
	buffer_store_dword v85, off, s[36:39], 0 offset:1208 ; 4-byte Folded Spill
	buffer_store_dword v86, off, s[36:39], 0 offset:1212 ; 4-byte Folded Spill
	;; [unrolled: 1-line block ×3, first 2 shown]
	v_mul_f64 v[48:49], v[48:49], v[86:87]
	v_fma_f64 v[48:49], v[50:51], v[84:85], v[48:49]
	v_mul_u32_u24_sdwa v50, v180, s11 dst_sel:DWORD dst_unused:UNUSED_PAD src0_sel:WORD_0 src1_sel:DWORD
	v_lshrrev_b32_e32 v177, 20, v50
	v_mul_lo_u16_e32 v50, 30, v177
	v_sub_u16_e32 v178, v180, v50
	v_mul_lo_u16_e32 v50, 0x90, v178
	v_add_co_u32_e32 v50, vcc, s10, v50
	v_addc_co_u32_e32 v51, vcc, 0, v103, vcc
	global_load_dwordx4 v[90:93], v[50:51], off offset:480
	global_load_dwordx4 v[86:89], v[50:51], off offset:464
	;; [unrolled: 1-line block ×4, first 2 shown]
	s_movk_i32 s11, 0x12c
	s_waitcnt vmcnt(0) lgkmcnt(8)
	v_mul_f64 v[84:85], v[42:43], v[108:109]
	v_fma_f64 v[96:97], v[40:41], v[106:107], -v[84:85]
	buffer_store_dword v106, off, s[36:39], 0 offset:1284 ; 4-byte Folded Spill
	s_nop 0
	buffer_store_dword v107, off, s[36:39], 0 offset:1288 ; 4-byte Folded Spill
	buffer_store_dword v108, off, s[36:39], 0 offset:1292 ; 4-byte Folded Spill
	;; [unrolled: 1-line block ×4, first 2 shown]
	s_nop 0
	buffer_store_dword v99, off, s[36:39], 0 offset:1304 ; 4-byte Folded Spill
	buffer_store_dword v100, off, s[36:39], 0 offset:1308 ; 4-byte Folded Spill
	;; [unrolled: 1-line block ×3, first 2 shown]
	v_mul_f64 v[40:41], v[40:41], v[108:109]
	v_fma_f64 v[84:85], v[42:43], v[106:107], v[40:41]
	s_waitcnt lgkmcnt(7)
	v_mul_f64 v[40:41], v[38:39], v[100:101]
	v_fma_f64 v[108:109], v[36:37], v[98:99], -v[40:41]
	v_mul_f64 v[36:37], v[36:37], v[100:101]
	v_fma_f64 v[164:165], v[38:39], v[98:99], v[36:37]
	v_mov_b32_e32 v38, v86
	v_mov_b32_e32 v39, v87
	;; [unrolled: 1-line block ×4, first 2 shown]
	buffer_store_dword v38, off, s[36:39], 0 offset:1316 ; 4-byte Folded Spill
	s_nop 0
	buffer_store_dword v39, off, s[36:39], 0 offset:1320 ; 4-byte Folded Spill
	buffer_store_dword v40, off, s[36:39], 0 offset:1324 ; 4-byte Folded Spill
	;; [unrolled: 1-line block ×4, first 2 shown]
	s_nop 0
	buffer_store_dword v91, off, s[36:39], 0 offset:1336 ; 4-byte Folded Spill
	buffer_store_dword v92, off, s[36:39], 0 offset:1340 ; 4-byte Folded Spill
	;; [unrolled: 1-line block ×3, first 2 shown]
	s_waitcnt lgkmcnt(6)
	v_mul_f64 v[36:37], v[34:35], v[40:41]
	v_fma_f64 v[88:89], v[32:33], v[38:39], -v[36:37]
	v_mul_f64 v[32:33], v[32:33], v[40:41]
	v_fma_f64 v[86:87], v[34:35], v[38:39], v[32:33]
	s_waitcnt lgkmcnt(5)
	v_mul_f64 v[32:33], v[30:31], v[92:93]
	v_fma_f64 v[110:111], v[28:29], v[90:91], -v[32:33]
	v_mul_f64 v[28:29], v[28:29], v[92:93]
	v_fma_f64 v[106:107], v[30:31], v[90:91], v[28:29]
	global_load_dwordx4 v[30:33], v[50:51], off offset:544
	global_load_dwordx4 v[34:37], v[50:51], off offset:528
	;; [unrolled: 1-line block ×4, first 2 shown]
	s_waitcnt vmcnt(1)
	buffer_store_dword v38, off, s[36:39], 0 offset:1380 ; 4-byte Folded Spill
	s_nop 0
	buffer_store_dword v39, off, s[36:39], 0 offset:1384 ; 4-byte Folded Spill
	buffer_store_dword v40, off, s[36:39], 0 offset:1388 ; 4-byte Folded Spill
	buffer_store_dword v41, off, s[36:39], 0 offset:1392 ; 4-byte Folded Spill
	buffer_store_dword v34, off, s[36:39], 0 offset:1396 ; 4-byte Folded Spill
	s_nop 0
	buffer_store_dword v35, off, s[36:39], 0 offset:1400 ; 4-byte Folded Spill
	buffer_store_dword v36, off, s[36:39], 0 offset:1404 ; 4-byte Folded Spill
	buffer_store_dword v37, off, s[36:39], 0 offset:1408 ; 4-byte Folded Spill
	buffer_store_dword v30, off, s[36:39], 0 offset:1428 ; 4-byte Folded Spill
	s_nop 0
	buffer_store_dword v31, off, s[36:39], 0 offset:1432 ; 4-byte Folded Spill
	buffer_store_dword v32, off, s[36:39], 0 offset:1436 ; 4-byte Folded Spill
	buffer_store_dword v33, off, s[36:39], 0 offset:1440 ; 4-byte Folded Spill
	s_waitcnt vmcnt(12) lgkmcnt(4)
	v_mul_f64 v[28:29], v[26:27], v[142:143]
	v_fma_f64 v[92:93], v[24:25], v[140:141], -v[28:29]
	v_mul_f64 v[24:25], v[24:25], v[142:143]
	v_fma_f64 v[90:91], v[26:27], v[140:141], v[24:25]
	s_waitcnt lgkmcnt(3)
	v_mul_f64 v[24:25], v[22:23], v[40:41]
	v_fma_f64 v[116:117], v[20:21], v[38:39], -v[24:25]
	v_mul_f64 v[20:21], v[20:21], v[40:41]
	v_fma_f64 v[112:113], v[22:23], v[38:39], v[20:21]
	s_waitcnt lgkmcnt(2)
	v_mul_f64 v[20:21], v[18:19], v[36:37]
	v_fma_f64 v[98:99], v[16:17], v[34:35], -v[20:21]
	v_mul_f64 v[16:17], v[16:17], v[36:37]
	v_add_f64 v[20:21], v[138:139], -v[146:147]
	v_fma_f64 v[94:95], v[18:19], v[34:35], v[16:17]
	s_waitcnt lgkmcnt(1)
	v_mul_f64 v[16:17], v[14:15], v[32:33]
	v_add_f64 v[18:19], v[154:155], -v[152:153]
	v_fma_f64 v[118:119], v[12:13], v[30:31], -v[16:17]
	v_mul_f64 v[12:13], v[12:13], v[32:33]
	v_fma_f64 v[114:115], v[14:15], v[30:31], v[12:13]
	global_load_dwordx4 v[14:17], v[50:51], off offset:560
	s_waitcnt vmcnt(0)
	buffer_store_dword v14, off, s[36:39], 0 offset:1460 ; 4-byte Folded Spill
	s_nop 0
	buffer_store_dword v15, off, s[36:39], 0 offset:1464 ; 4-byte Folded Spill
	buffer_store_dword v16, off, s[36:39], 0 offset:1468 ; 4-byte Folded Spill
	;; [unrolled: 1-line block ×3, first 2 shown]
	s_waitcnt vmcnt(0) lgkmcnt(0)
	s_barrier
	v_mul_f64 v[12:13], v[10:11], v[16:17]
	v_fma_f64 v[169:170], v[8:9], v[14:15], -v[12:13]
	v_mul_f64 v[8:9], v[8:9], v[16:17]
	v_add_f64 v[16:17], v[158:159], -v[160:161]
	v_fma_f64 v[100:101], v[10:11], v[14:15], v[8:9]
	v_add_f64 v[8:9], v[4:5], v[158:159]
	v_add_f64 v[10:11], v[150:151], -v[173:174]
	v_add_f64 v[14:15], v[156:157], -v[162:163]
	v_add_f64 v[16:17], v[16:17], v[18:19]
	v_add_f64 v[18:19], v[146:147], -v[138:139]
	v_add_f64 v[8:9], v[8:9], v[160:161]
	v_add_f64 v[8:9], v[8:9], v[152:153]
	;; [unrolled: 1-line block ×4, first 2 shown]
	v_fma_f64 v[8:9], v[8:9], -0.5, v[4:5]
	v_fma_f64 v[12:13], v[10:11], s[6:7], v[8:9]
	v_fma_f64 v[8:9], v[10:11], s[16:17], v[8:9]
	;; [unrolled: 1-line block ×6, first 2 shown]
	v_add_f64 v[8:9], v[158:159], v[154:155]
	v_add_f64 v[12:13], v[160:161], -v[158:159]
	v_add_f64 v[16:17], v[152:153], -v[154:155]
	v_fma_f64 v[4:5], v[8:9], -0.5, v[4:5]
	v_add_f64 v[12:13], v[12:13], v[16:17]
	v_add_f64 v[16:17], v[173:174], -v[162:163]
	v_fma_f64 v[8:9], v[14:15], s[16:17], v[4:5]
	v_fma_f64 v[4:5], v[14:15], s[6:7], v[4:5]
	v_add_f64 v[14:15], v[150:151], -v[156:157]
	v_fma_f64 v[8:9], v[10:11], s[8:9], v[8:9]
	v_fma_f64 v[4:5], v[10:11], s[18:19], v[4:5]
	v_add_f64 v[14:15], v[14:15], v[16:17]
	v_add_f64 v[16:17], v[144:145], -v[148:149]
	v_fma_f64 v[32:33], v[12:13], s[14:15], v[8:9]
	v_fma_f64 v[38:39], v[12:13], s[14:15], v[4:5]
	v_add_f64 v[4:5], v[6:7], v[150:151]
	v_add_f64 v[8:9], v[158:159], -v[154:155]
	v_add_f64 v[12:13], v[160:161], -v[152:153]
	v_add_f64 v[4:5], v[4:5], v[156:157]
	v_add_f64 v[4:5], v[4:5], v[162:163]
	;; [unrolled: 1-line block ×4, first 2 shown]
	v_fma_f64 v[4:5], v[4:5], -0.5, v[6:7]
	v_fma_f64 v[10:11], v[8:9], s[16:17], v[4:5]
	v_fma_f64 v[4:5], v[8:9], s[6:7], v[4:5]
	;; [unrolled: 1-line block ×6, first 2 shown]
	v_add_f64 v[4:5], v[150:151], v[173:174]
	v_add_f64 v[10:11], v[156:157], -v[150:151]
	v_add_f64 v[14:15], v[162:163], -v[173:174]
	v_fma_f64 v[4:5], v[4:5], -0.5, v[6:7]
	v_add_f64 v[10:11], v[10:11], v[14:15]
	v_add_f64 v[14:15], v[148:149], -v[144:145]
	v_fma_f64 v[6:7], v[12:13], s[6:7], v[4:5]
	v_fma_f64 v[4:5], v[12:13], s[16:17], v[4:5]
	v_add_f64 v[12:13], v[126:127], -v[134:135]
	v_fma_f64 v[6:7], v[8:9], s[18:19], v[6:7]
	v_fma_f64 v[4:5], v[8:9], s[8:9], v[4:5]
	v_add_f64 v[12:13], v[12:13], v[14:15]
	v_fma_f64 v[128:129], v[10:11], s[14:15], v[6:7]
	v_fma_f64 v[30:31], v[10:11], s[14:15], v[4:5]
	v_add_f64 v[4:5], v[136:137], v[126:127]
	v_add_f64 v[6:7], v[124:125], -v[146:147]
	v_add_f64 v[10:11], v[132:133], -v[138:139]
	v_add_f64 v[4:5], v[4:5], v[134:135]
	v_add_f64 v[4:5], v[4:5], v[144:145]
	;; [unrolled: 1-line block ×4, first 2 shown]
	v_fma_f64 v[4:5], v[4:5], -0.5, v[136:137]
	v_fma_f64 v[8:9], v[6:7], s[6:7], v[4:5]
	v_fma_f64 v[4:5], v[6:7], s[16:17], v[4:5]
	;; [unrolled: 1-line block ×6, first 2 shown]
	v_add_f64 v[4:5], v[126:127], v[148:149]
	v_add_f64 v[12:13], v[134:135], -v[126:127]
	v_fma_f64 v[4:5], v[4:5], -0.5, v[136:137]
	v_add_f64 v[12:13], v[12:13], v[16:17]
	v_add_f64 v[16:17], v[124:125], -v[132:133]
	v_fma_f64 v[8:9], v[10:11], s[16:17], v[4:5]
	v_fma_f64 v[4:5], v[10:11], s[6:7], v[4:5]
	v_add_f64 v[16:17], v[16:17], v[18:19]
	v_add_f64 v[18:19], v[132:133], -v[124:125]
	v_fma_f64 v[8:9], v[6:7], s[8:9], v[8:9]
	v_fma_f64 v[4:5], v[6:7], s[18:19], v[4:5]
	v_add_f64 v[18:19], v[18:19], v[20:21]
	v_add_f64 v[20:21], v[24:25], v[36:37]
	v_fma_f64 v[136:137], v[12:13], s[14:15], v[8:9]
	v_fma_f64 v[6:7], v[12:13], s[14:15], v[4:5]
	v_add_f64 v[4:5], v[122:123], v[124:125]
	v_add_f64 v[8:9], v[126:127], -v[148:149]
	v_add_f64 v[12:13], v[134:135], -v[144:145]
	v_add_f64 v[4:5], v[4:5], v[132:133]
	v_add_f64 v[4:5], v[4:5], v[138:139]
	;; [unrolled: 1-line block ×5, first 2 shown]
	v_fma_f64 v[4:5], v[4:5], -0.5, v[122:123]
	v_add_f64 v[42:43], v[42:43], -v[150:151]
	v_fma_f64 v[10:11], v[8:9], s[16:17], v[4:5]
	v_fma_f64 v[4:5], v[8:9], s[6:7], v[4:5]
	v_fma_f64 v[10:11], v[12:13], s[18:19], v[10:11]
	v_fma_f64 v[4:5], v[12:13], s[8:9], v[4:5]
	v_fma_f64 v[10:11], v[16:17], s[14:15], v[10:11]
	v_fma_f64 v[126:127], v[16:17], s[14:15], v[4:5]
	v_add_f64 v[4:5], v[124:125], v[146:147]
	v_fma_f64 v[4:5], v[4:5], -0.5, v[122:123]
	v_fma_f64 v[16:17], v[12:13], s[6:7], v[4:5]
	v_fma_f64 v[4:5], v[12:13], s[16:17], v[4:5]
	;; [unrolled: 1-line block ×6, first 2 shown]
	v_mul_f64 v[4:5], v[10:11], s[8:9]
	v_fma_f64 v[132:133], v[14:15], s[20:21], v[4:5]
	v_mul_f64 v[14:15], v[14:15], s[18:19]
	v_mul_f64 v[4:5], v[122:123], s[6:7]
	v_add_f64 v[16:17], v[28:29], v[132:133]
	v_fma_f64 v[146:147], v[10:11], s[20:21], v[14:15]
	v_mul_f64 v[10:11], v[136:137], s[16:17]
	v_fma_f64 v[134:135], v[136:137], s[14:15], v[4:5]
	v_mul_f64 v[4:5], v[6:7], s[22:23]
	v_add_f64 v[136:137], v[66:67], -v[58:59]
	v_add_f64 v[18:19], v[50:51], v[146:147]
	v_fma_f64 v[122:123], v[122:123], s[14:15], v[10:11]
	v_mul_f64 v[10:11], v[124:125], s[22:23]
	v_fma_f64 v[138:139], v[124:125], s[6:7], v[4:5]
	v_mul_f64 v[4:5], v[40:41], s[24:25]
	v_add_f64 v[12:13], v[32:33], v[134:135]
	v_add_f64 v[32:33], v[32:33], -v[134:135]
	v_add_f64 v[134:135], v[58:59], -v[66:67]
	v_add_f64 v[14:15], v[128:129], v[122:123]
	v_fma_f64 v[124:125], v[6:7], s[16:17], v[10:11]
	v_mul_f64 v[6:7], v[126:127], s[24:25]
	v_add_f64 v[8:9], v[38:39], v[138:139]
	v_fma_f64 v[144:145], v[126:127], s[8:9], v[4:5]
	v_add_f64 v[10:11], v[30:31], v[124:125]
	v_fma_f64 v[126:127], v[40:41], s[18:19], v[6:7]
	v_add_f64 v[40:41], v[24:25], -v[36:37]
	v_add_f64 v[36:37], v[28:29], -v[132:133]
	;; [unrolled: 1-line block ×4, first 2 shown]
	v_add_f64 v[50:51], v[44:45], v[82:83]
	v_add_f64 v[4:5], v[34:35], v[144:145]
	v_add_f64 v[24:25], v[34:35], -v[144:145]
	v_add_f64 v[34:35], v[128:129], -v[122:123]
	;; [unrolled: 1-line block ×4, first 2 shown]
	v_add_f64 v[6:7], v[26:27], v[126:127]
	v_add_f64 v[26:27], v[26:27], -v[126:127]
	v_add_f64 v[50:51], v[50:51], v[74:75]
	v_add_f64 v[128:129], v[70:71], -v[62:63]
	v_add_f64 v[132:133], v[82:83], -v[74:75]
	v_add_f64 v[50:51], v[50:51], v[66:67]
	v_add_f64 v[132:133], v[132:133], v[134:135]
	v_add_f64 v[134:135], v[74:75], -v[82:83]
	v_add_f64 v[122:123], v[50:51], v[58:59]
	v_add_f64 v[50:51], v[74:75], v[66:67]
	v_add_f64 v[74:75], v[74:75], -v[66:67]
	v_add_f64 v[134:135], v[134:135], v[136:137]
	v_add_f64 v[66:67], v[78:79], -v[70:71]
	v_fma_f64 v[50:51], v[50:51], -0.5, v[44:45]
	v_fma_f64 v[126:127], v[124:125], s[6:7], v[50:51]
	v_fma_f64 v[50:51], v[124:125], s[16:17], v[50:51]
	;; [unrolled: 1-line block ×6, first 2 shown]
	v_add_f64 v[50:51], v[82:83], v[58:59]
	v_fma_f64 v[44:45], v[50:51], -0.5, v[44:45]
	v_fma_f64 v[50:51], v[128:129], s[16:17], v[44:45]
	v_fma_f64 v[44:45], v[128:129], s[6:7], v[44:45]
	v_fma_f64 v[50:51], v[124:125], s[8:9], v[50:51]
	v_fma_f64 v[44:45], v[124:125], s[18:19], v[44:45]
	v_fma_f64 v[136:137], v[134:135], s[14:15], v[50:51]
	v_fma_f64 v[124:125], v[134:135], s[14:15], v[44:45]
	v_add_f64 v[44:45], v[46:47], v[78:79]
	v_add_f64 v[50:51], v[82:83], -v[58:59]
	v_add_f64 v[82:83], v[54:55], -v[62:63]
	v_add_f64 v[44:45], v[44:45], v[70:71]
	v_add_f64 v[66:67], v[66:67], v[82:83]
	v_add_f64 v[82:83], v[60:61], -v[52:53]
	v_add_f64 v[44:45], v[44:45], v[62:63]
	v_add_f64 v[128:129], v[44:45], v[54:55]
	;; [unrolled: 1-line block ×3, first 2 shown]
	v_fma_f64 v[44:45], v[44:45], -0.5, v[46:47]
	v_fma_f64 v[58:59], v[50:51], s[16:17], v[44:45]
	v_fma_f64 v[44:45], v[50:51], s[6:7], v[44:45]
	;; [unrolled: 1-line block ×6, first 2 shown]
	v_add_f64 v[44:45], v[78:79], v[54:55]
	v_add_f64 v[58:59], v[70:71], -v[78:79]
	v_add_f64 v[54:55], v[62:63], -v[54:55]
	;; [unrolled: 1-line block ×3, first 2 shown]
	v_fma_f64 v[44:45], v[44:45], -0.5, v[46:47]
	v_add_f64 v[54:55], v[58:59], v[54:55]
	v_add_f64 v[58:59], v[76:77], -v[68:69]
	v_fma_f64 v[46:47], v[74:75], s[6:7], v[44:45]
	v_fma_f64 v[44:45], v[74:75], s[16:17], v[44:45]
	v_add_f64 v[58:59], v[58:59], v[62:63]
	v_add_f64 v[62:63], v[68:69], -v[76:77]
	v_fma_f64 v[46:47], v[50:51], s[18:19], v[46:47]
	v_fma_f64 v[44:45], v[50:51], s[8:9], v[44:45]
	v_add_f64 v[62:63], v[62:63], v[82:83]
	v_fma_f64 v[138:139], v[54:55], s[14:15], v[46:47]
	v_fma_f64 v[70:71], v[54:55], s[14:15], v[44:45]
	v_add_f64 v[44:45], v[120:121], v[76:77]
	v_add_f64 v[46:47], v[72:73], -v[48:49]
	v_add_f64 v[54:55], v[64:65], -v[56:57]
	v_add_f64 v[44:45], v[44:45], v[68:69]
	v_add_f64 v[44:45], v[44:45], v[60:61]
	;; [unrolled: 1-line block ×4, first 2 shown]
	v_fma_f64 v[44:45], v[44:45], -0.5, v[120:121]
	v_fma_f64 v[50:51], v[46:47], s[6:7], v[44:45]
	v_fma_f64 v[44:45], v[46:47], s[16:17], v[44:45]
	v_fma_f64 v[50:51], v[54:55], s[8:9], v[50:51]
	v_fma_f64 v[44:45], v[54:55], s[18:19], v[44:45]
	v_fma_f64 v[50:51], v[58:59], s[14:15], v[50:51]
	v_fma_f64 v[78:79], v[58:59], s[14:15], v[44:45]
	v_add_f64 v[44:45], v[76:77], v[52:53]
	v_add_f64 v[52:53], v[76:77], -v[52:53]
	v_fma_f64 v[44:45], v[44:45], -0.5, v[120:121]
	v_fma_f64 v[58:59], v[54:55], s[16:17], v[44:45]
	v_fma_f64 v[44:45], v[54:55], s[6:7], v[44:45]
	;; [unrolled: 1-line block ×6, first 2 shown]
	v_add_f64 v[44:45], v[80:81], v[72:73]
	v_add_f64 v[58:59], v[68:69], -v[60:61]
	v_add_f64 v[60:61], v[72:73], -v[64:65]
	;; [unrolled: 1-line block ×3, first 2 shown]
	v_add_f64 v[44:45], v[44:45], v[64:65]
	v_add_f64 v[60:61], v[60:61], v[62:63]
	v_add_f64 v[62:63], v[64:65], -v[72:73]
	v_add_f64 v[44:45], v[44:45], v[56:57]
	v_add_f64 v[120:121], v[44:45], v[48:49]
	;; [unrolled: 1-line block ×3, first 2 shown]
	v_fma_f64 v[44:45], v[44:45], -0.5, v[80:81]
	v_fma_f64 v[54:55], v[52:53], s[16:17], v[44:45]
	v_fma_f64 v[44:45], v[52:53], s[6:7], v[44:45]
	;; [unrolled: 1-line block ×6, first 2 shown]
	v_add_f64 v[44:45], v[72:73], v[48:49]
	v_add_f64 v[48:49], v[56:57], -v[48:49]
	v_fma_f64 v[44:45], v[44:45], -0.5, v[80:81]
	v_add_f64 v[48:49], v[62:63], v[48:49]
	v_add_f64 v[80:81], v[122:123], -v[74:75]
	v_add_f64 v[62:63], v[128:129], v[120:121]
	v_fma_f64 v[60:61], v[58:59], s[6:7], v[44:45]
	v_fma_f64 v[44:45], v[58:59], s[16:17], v[44:45]
	;; [unrolled: 1-line block ×6, first 2 shown]
	v_mul_f64 v[44:45], v[54:55], s[8:9]
	v_add_f64 v[60:61], v[122:123], v[74:75]
	v_add_f64 v[122:123], v[110:111], v[116:117]
	v_fma_f64 v[76:77], v[50:51], s[20:21], v[44:45]
	v_mul_f64 v[44:45], v[64:65], s[6:7]
	v_mul_f64 v[50:51], v[50:51], s[18:19]
	v_fma_f64 v[122:123], v[122:123], -0.5, v[0:1]
	v_add_f64 v[56:57], v[126:127], v[76:77]
	v_fma_f64 v[144:145], v[82:83], s[14:15], v[44:45]
	v_mul_f64 v[44:45], v[46:47], s[22:23]
	v_fma_f64 v[150:151], v[54:55], s[20:21], v[50:51]
	v_mul_f64 v[50:51], v[82:83], s[16:17]
	v_add_f64 v[76:77], v[126:127], -v[76:77]
	v_add_f64 v[82:83], v[128:129], -v[120:121]
	;; [unrolled: 1-line block ×3, first 2 shown]
	v_add_f64 v[120:121], v[0:1], v[108:109]
	v_add_f64 v[52:53], v[136:137], v[144:145]
	v_fma_f64 v[146:147], v[72:73], s[6:7], v[44:45]
	v_mul_f64 v[44:45], v[78:79], s[24:25]
	v_fma_f64 v[152:153], v[64:65], s[14:15], v[50:51]
	v_mul_f64 v[50:51], v[72:73], s[22:23]
	v_add_f64 v[58:59], v[134:135], v[150:151]
	v_add_f64 v[72:73], v[136:137], -v[144:145]
	v_add_f64 v[136:137], v[116:117], -v[118:119]
	v_add_f64 v[120:121], v[120:121], v[110:111]
	v_add_f64 v[48:49], v[124:125], v[146:147]
	v_fma_f64 v[148:149], v[68:69], s[8:9], v[44:45]
	v_add_f64 v[54:55], v[138:139], v[152:153]
	v_fma_f64 v[154:155], v[46:47], s[16:17], v[50:51]
	v_mul_f64 v[46:47], v[68:69], s[24:25]
	v_add_f64 v[68:69], v[124:125], -v[146:147]
	v_add_f64 v[124:125], v[164:165], -v[114:115]
	v_add_f64 v[120:121], v[120:121], v[116:117]
	v_add_f64 v[74:75], v[138:139], -v[152:153]
	v_add_f64 v[44:45], v[132:133], v[148:149]
	v_add_f64 v[64:65], v[132:133], -v[148:149]
	v_add_f64 v[132:133], v[108:109], -v[110:111]
	v_fma_f64 v[156:157], v[78:79], s[18:19], v[46:47]
	v_add_f64 v[78:79], v[134:135], -v[150:151]
	v_fma_f64 v[126:127], v[124:125], s[6:7], v[122:123]
	;; [unrolled: 2-line block ×3, first 2 shown]
	v_add_f64 v[120:121], v[120:121], v[118:119]
	v_add_f64 v[138:139], v[98:99], -v[169:170]
	v_add_f64 v[50:51], v[70:71], v[154:155]
	v_add_f64 v[70:71], v[70:71], -v[154:155]
	v_add_f64 v[46:47], v[66:67], v[156:157]
	v_fma_f64 v[126:127], v[128:129], s[8:9], v[126:127]
	v_add_f64 v[132:133], v[132:133], v[134:135]
	v_fma_f64 v[122:123], v[128:129], s[18:19], v[122:123]
	v_add_f64 v[134:135], v[110:111], -v[108:109]
	v_add_f64 v[110:111], v[110:111], -v[116:117]
	;; [unrolled: 1-line block ×3, first 2 shown]
	v_fma_f64 v[126:127], v[132:133], s[14:15], v[126:127]
	v_fma_f64 v[132:133], v[132:133], s[14:15], v[122:123]
	v_add_f64 v[122:123], v[108:109], v[118:119]
	v_add_f64 v[134:135], v[134:135], v[136:137]
	v_add_f64 v[108:109], v[108:109], -v[118:119]
	v_add_f64 v[136:137], v[169:170], -v[98:99]
	v_fma_f64 v[0:1], v[122:123], -0.5, v[0:1]
	v_fma_f64 v[122:123], v[128:129], s[16:17], v[0:1]
	v_fma_f64 v[0:1], v[128:129], s[6:7], v[0:1]
	;; [unrolled: 1-line block ×6, first 2 shown]
	v_add_f64 v[0:1], v[2:3], v[164:165]
	v_add_f64 v[134:135], v[114:115], -v[112:113]
	v_add_f64 v[0:1], v[0:1], v[106:107]
	v_add_f64 v[0:1], v[0:1], v[112:113]
	;; [unrolled: 1-line block ×4, first 2 shown]
	v_add_f64 v[112:113], v[112:113], -v[114:115]
	v_fma_f64 v[0:1], v[0:1], -0.5, v[2:3]
	v_fma_f64 v[118:119], v[108:109], s[16:17], v[0:1]
	v_fma_f64 v[0:1], v[108:109], s[6:7], v[0:1]
	;; [unrolled: 1-line block ×3, first 2 shown]
	v_add_f64 v[118:119], v[164:165], -v[106:107]
	v_fma_f64 v[0:1], v[110:111], s[8:9], v[0:1]
	v_add_f64 v[106:107], v[106:107], -v[164:165]
	v_add_f64 v[118:119], v[118:119], v[134:135]
	v_add_f64 v[106:107], v[106:107], v[112:113]
	v_fma_f64 v[116:117], v[118:119], s[14:15], v[116:117]
	v_fma_f64 v[0:1], v[118:119], s[14:15], v[0:1]
	v_add_f64 v[118:119], v[164:165], v[114:115]
	v_add_f64 v[114:115], v[90:91], -v[94:95]
	v_mov_b32_e32 v165, v184
	v_fma_f64 v[2:3], v[118:119], -0.5, v[2:3]
	v_fma_f64 v[118:119], v[110:111], s[6:7], v[2:3]
	v_fma_f64 v[2:3], v[110:111], s[16:17], v[2:3]
	;; [unrolled: 1-line block ×4, first 2 shown]
	v_add_f64 v[108:109], v[86:87], -v[100:101]
	v_fma_f64 v[134:135], v[106:107], s[14:15], v[118:119]
	v_fma_f64 v[2:3], v[106:107], s[14:15], v[2:3]
	v_add_f64 v[106:107], v[96:97], v[88:89]
	v_add_f64 v[118:119], v[88:89], -v[92:93]
	v_add_f64 v[106:107], v[106:107], v[92:93]
	v_add_f64 v[118:119], v[118:119], v[136:137]
	v_add_f64 v[136:137], v[92:93], -v[88:89]
	v_add_f64 v[106:107], v[106:107], v[98:99]
	v_add_f64 v[136:137], v[136:137], v[138:139]
	;; [unrolled: 1-line block ×4, first 2 shown]
	v_add_f64 v[92:93], v[92:93], -v[98:99]
	v_fma_f64 v[106:107], v[106:107], -0.5, v[96:97]
	v_fma_f64 v[112:113], v[108:109], s[6:7], v[106:107]
	v_fma_f64 v[106:107], v[108:109], s[16:17], v[106:107]
	v_fma_f64 v[112:113], v[114:115], s[8:9], v[112:113]
	v_fma_f64 v[106:107], v[114:115], s[18:19], v[106:107]
	v_fma_f64 v[112:113], v[118:119], s[14:15], v[112:113]
	v_fma_f64 v[118:119], v[118:119], s[14:15], v[106:107]
	v_add_f64 v[106:107], v[88:89], v[169:170]
	v_add_f64 v[88:89], v[88:89], -v[169:170]
	v_mov_b32_e32 v169, v185
	v_mov_b32_e32 v170, v186
	v_fma_f64 v[96:97], v[106:107], -0.5, v[96:97]
	v_fma_f64 v[106:107], v[114:115], s[16:17], v[96:97]
	v_fma_f64 v[96:97], v[114:115], s[6:7], v[96:97]
	v_add_f64 v[114:115], v[100:101], -v[94:95]
	v_fma_f64 v[106:107], v[108:109], s[8:9], v[106:107]
	v_fma_f64 v[96:97], v[108:109], s[18:19], v[96:97]
	;; [unrolled: 1-line block ×4, first 2 shown]
	v_add_f64 v[96:97], v[84:85], v[86:87]
	v_add_f64 v[96:97], v[96:97], v[90:91]
	;; [unrolled: 1-line block ×5, first 2 shown]
	v_fma_f64 v[96:97], v[96:97], -0.5, v[84:85]
	v_fma_f64 v[106:107], v[88:89], s[16:17], v[96:97]
	v_fma_f64 v[96:97], v[88:89], s[6:7], v[96:97]
	;; [unrolled: 1-line block ×3, first 2 shown]
	v_add_f64 v[106:107], v[86:87], -v[90:91]
	v_fma_f64 v[96:97], v[92:93], s[8:9], v[96:97]
	v_add_f64 v[106:107], v[106:107], v[114:115]
	v_fma_f64 v[114:115], v[106:107], s[14:15], v[96:97]
	v_add_f64 v[96:97], v[86:87], v[100:101]
	v_add_f64 v[86:87], v[90:91], -v[86:87]
	v_add_f64 v[90:91], v[94:95], -v[100:101]
	v_fma_f64 v[98:99], v[106:107], s[14:15], v[98:99]
	v_fma_f64 v[84:85], v[96:97], -0.5, v[84:85]
	v_add_f64 v[86:87], v[86:87], v[90:91]
	v_mul_f64 v[90:91], v[112:113], s[18:19]
	v_fma_f64 v[96:97], v[92:93], s[6:7], v[84:85]
	v_fma_f64 v[84:85], v[92:93], s[16:17], v[84:85]
	;; [unrolled: 1-line block ×5, first 2 shown]
	v_add_f64 v[90:91], v[116:117], v[152:153]
	v_add_f64 v[116:117], v[116:117], -v[152:153]
	v_fma_f64 v[94:95], v[86:87], s[14:15], v[96:97]
	v_fma_f64 v[100:101], v[86:87], s[14:15], v[84:85]
	v_mul_f64 v[86:87], v[98:99], s[8:9]
	v_mul_f64 v[98:99], v[138:139], s[16:17]
	v_add_f64 v[84:85], v[120:121], v[110:111]
	v_add_f64 v[110:111], v[120:121], -v[110:111]
	v_fma_f64 v[144:145], v[112:113], s[20:21], v[86:87]
	v_mul_f64 v[86:87], v[94:95], s[6:7]
	v_add_f64 v[112:113], v[128:129], -v[136:137]
	v_add_f64 v[88:89], v[126:127], v[144:145]
	v_fma_f64 v[146:147], v[138:139], s[14:15], v[86:87]
	v_mul_f64 v[86:87], v[108:109], s[22:23]
	v_fma_f64 v[138:139], v[94:95], s[14:15], v[98:99]
	v_mul_f64 v[98:99], v[100:101], s[22:23]
	v_add_f64 v[92:93], v[122:123], v[146:147]
	v_fma_f64 v[148:149], v[100:101], s[6:7], v[86:87]
	v_mul_f64 v[86:87], v[118:119], s[24:25]
	v_fma_f64 v[100:101], v[108:109], s[16:17], v[98:99]
	v_mul_f64 v[108:109], v[114:115], s[24:25]
	v_add_f64 v[94:95], v[134:135], v[138:139]
	v_add_f64 v[120:121], v[134:135], -v[138:139]
	v_add_f64 v[96:97], v[124:125], v[148:149]
	v_fma_f64 v[150:151], v[114:115], s[8:9], v[86:87]
	v_add_f64 v[86:87], v[128:129], v[136:137]
	v_fma_f64 v[154:155], v[118:119], s[18:19], v[108:109]
	v_add_f64 v[98:99], v[2:3], v[100:101]
	v_add_f64 v[118:119], v[122:123], -v[146:147]
	v_add_f64 v[122:123], v[124:125], -v[148:149]
	;; [unrolled: 1-line block ×3, first 2 shown]
	v_lshlrev_b32_e32 v100, 5, v130
	v_add_f64 v[106:107], v[132:133], v[150:151]
	v_add_f64 v[114:115], v[126:127], -v[144:145]
	v_add_f64 v[108:109], v[0:1], v[154:155]
	v_add_f64 v[134:135], v[0:1], -v[154:155]
	v_mul_u32_u24_e32 v0, 0x12c, v102
	v_add_lshl_u32 v162, v0, v131, 4
	v_mul_u32_u24_e32 v0, 0x12c, v175
	v_add_co_u32_e32 v131, vcc, s10, v100
	v_add_lshl_u32 v174, v0, v176, 4
	v_mad_legacy_u16 v0, v177, s11, v178
	v_addc_co_u32_e32 v148, vcc, 0, v103, vcc
	s_movk_i32 s11, 0x1290
	v_add_co_u32_e32 v100, vcc, s11, v131
	v_addc_co_u32_e32 v101, vcc, 0, v148, vcc
	v_add_co_u32_e32 v127, vcc, s27, v131
	v_add_f64 v[132:133], v[132:133], -v[150:151]
	v_lshlrev_b32_e32 v173, 4, v0
	v_addc_co_u32_e32 v128, vcc, 0, v148, vcc
	ds_write_b128 v162, v[20:23]
	ds_write_b128 v162, v[16:19] offset:480
	ds_write_b128 v162, v[12:15] offset:960
	ds_write_b128 v162, v[8:11] offset:1440
	ds_write_b128 v162, v[4:7] offset:1920
	ds_write_b128 v162, v[40:43] offset:2400
	ds_write_b128 v162, v[36:39] offset:2880
	ds_write_b128 v162, v[32:35] offset:3360
	ds_write_b128 v162, v[28:31] offset:3840
	ds_write_b128 v162, v[24:27] offset:4320
	ds_write_b128 v174, v[60:63]
	ds_write_b128 v174, v[56:59] offset:480
	ds_write_b128 v174, v[52:55] offset:960
	ds_write_b128 v174, v[48:51] offset:1440
	ds_write_b128 v174, v[44:47] offset:1920
	ds_write_b128 v174, v[80:83] offset:2400
	ds_write_b128 v174, v[76:79] offset:2880
	ds_write_b128 v174, v[72:75] offset:3360
	ds_write_b128 v174, v[68:71] offset:3840
	ds_write_b128 v174, v[64:67] offset:4320
	;; [unrolled: 10-line block ×3, first 2 shown]
	s_waitcnt lgkmcnt(0)
	s_barrier
	ds_read_b128 v[36:39], v104
	ds_read_b128 v[92:95], v104 offset:14400
	ds_read_b128 v[96:99], v104 offset:28800
	;; [unrolled: 1-line block ×29, first 2 shown]
	global_load_dwordx4 v[119:122], v[127:128], off offset:656
	global_load_dwordx4 v[144:147], v[100:101], off offset:16
	s_waitcnt vmcnt(1) lgkmcnt(14)
	v_mul_f64 v[100:101], v[94:95], v[121:122]
	v_fma_f64 v[113:114], v[92:93], v[119:120], -v[100:101]
	buffer_store_dword v119, off, s[36:39], 0 offset:1220 ; 4-byte Folded Spill
	s_nop 0
	buffer_store_dword v120, off, s[36:39], 0 offset:1224 ; 4-byte Folded Spill
	buffer_store_dword v121, off, s[36:39], 0 offset:1228 ; 4-byte Folded Spill
	;; [unrolled: 1-line block ×3, first 2 shown]
	s_waitcnt vmcnt(4)
	buffer_store_dword v144, off, s[36:39], 0 offset:1236 ; 4-byte Folded Spill
	s_nop 0
	buffer_store_dword v145, off, s[36:39], 0 offset:1240 ; 4-byte Folded Spill
	buffer_store_dword v146, off, s[36:39], 0 offset:1244 ; 4-byte Folded Spill
	buffer_store_dword v147, off, s[36:39], 0 offset:1248 ; 4-byte Folded Spill
	v_mul_f64 v[92:93], v[92:93], v[121:122]
	v_fma_f64 v[119:120], v[94:95], v[119:120], v[92:93]
	v_mul_f64 v[92:93], v[98:99], v[146:147]
	v_fma_f64 v[117:118], v[96:97], v[144:145], -v[92:93]
	v_mul_f64 v[92:93], v[96:97], v[146:147]
	v_fma_f64 v[121:122], v[98:99], v[144:145], v[92:93]
	v_lshlrev_b32_e32 v92, 5, v105
	v_add_co_u32_e32 v149, vcc, s10, v92
	v_addc_co_u32_e32 v150, vcc, 0, v103, vcc
	v_add_co_u32_e32 v92, vcc, s11, v149
	v_addc_co_u32_e32 v93, vcc, 0, v150, vcc
	v_add_co_u32_e32 v94, vcc, s27, v149
	v_addc_co_u32_e32 v95, vcc, 0, v150, vcc
	global_load_dwordx4 v[99:102], v[94:95], off offset:656
	s_waitcnt vmcnt(0)
	buffer_store_dword v99, off, s[36:39], 0 offset:1252 ; 4-byte Folded Spill
	s_nop 0
	buffer_store_dword v100, off, s[36:39], 0 offset:1256 ; 4-byte Folded Spill
	buffer_store_dword v101, off, s[36:39], 0 offset:1260 ; 4-byte Folded Spill
	;; [unrolled: 1-line block ×3, first 2 shown]
	global_load_dwordx4 v[144:147], v[92:93], off offset:16
	s_waitcnt vmcnt(0)
	buffer_store_dword v144, off, s[36:39], 0 offset:1268 ; 4-byte Folded Spill
	s_nop 0
	buffer_store_dword v145, off, s[36:39], 0 offset:1272 ; 4-byte Folded Spill
	buffer_store_dword v146, off, s[36:39], 0 offset:1276 ; 4-byte Folded Spill
	;; [unrolled: 1-line block ×3, first 2 shown]
	v_mul_f64 v[92:93], v[108:109], v[101:102]
	v_fma_f64 v[97:98], v[106:107], v[99:100], -v[92:93]
	v_mul_f64 v[92:93], v[106:107], v[101:102]
	v_fma_f64 v[105:106], v[108:109], v[99:100], v[92:93]
	v_mul_f64 v[92:93], v[125:126], v[146:147]
	v_fma_f64 v[101:102], v[123:124], v[144:145], -v[92:93]
	v_mul_f64 v[92:93], v[123:124], v[146:147]
	v_fma_f64 v[109:110], v[125:126], v[144:145], v[92:93]
	v_lshlrev_b32_e32 v92, 5, v180
	v_add_co_u32_e32 v151, vcc, s10, v92
	v_addc_co_u32_e32 v156, vcc, 0, v103, vcc
	v_add_co_u32_e32 v92, vcc, s11, v151
	v_addc_co_u32_e32 v93, vcc, 0, v156, vcc
	v_add_co_u32_e32 v94, vcc, s27, v151
	v_addc_co_u32_e32 v95, vcc, 0, v156, vcc
	global_load_dwordx4 v[152:155], v[94:95], off offset:656
	s_waitcnt vmcnt(0)
	buffer_store_dword v152, off, s[36:39], 0 offset:1348 ; 4-byte Folded Spill
	s_nop 0
	buffer_store_dword v153, off, s[36:39], 0 offset:1352 ; 4-byte Folded Spill
	buffer_store_dword v154, off, s[36:39], 0 offset:1356 ; 4-byte Folded Spill
	;; [unrolled: 1-line block ×3, first 2 shown]
	global_load_dwordx4 v[123:126], v[92:93], off offset:16
	s_waitcnt vmcnt(0)
	buffer_store_dword v123, off, s[36:39], 0 offset:1364 ; 4-byte Folded Spill
	s_nop 0
	buffer_store_dword v124, off, s[36:39], 0 offset:1368 ; 4-byte Folded Spill
	buffer_store_dword v125, off, s[36:39], 0 offset:1372 ; 4-byte Folded Spill
	;; [unrolled: 1-line block ×3, first 2 shown]
	v_mul_f64 v[92:93], v[134:135], v[154:155]
	buffer_store_dword v130, off, s[36:39], 0 offset:488 ; 4-byte Folded Spill
	v_fma_f64 v[146:147], v[132:133], v[152:153], -v[92:93]
	v_mul_f64 v[92:93], v[132:133], v[154:155]
	v_fma_f64 v[111:112], v[134:135], v[152:153], v[92:93]
	v_mul_f64 v[92:93], v[138:139], v[125:126]
	v_fma_f64 v[107:108], v[136:137], v[123:124], -v[92:93]
	v_mul_f64 v[92:93], v[136:137], v[125:126]
	v_fma_f64 v[115:116], v[138:139], v[123:124], v[92:93]
	v_add_co_u32_e32 v92, vcc, s29, v130
	v_addc_co_u32_e64 v93, s[30:31], 0, -1, vcc
	v_cmp_gt_u16_e32 vcc, 30, v130
	v_cndmask_b32_e32 v93, v93, v183, vcc
	v_cndmask_b32_e32 v92, v92, v171, vcc
	v_lshlrev_b64 v[93:94], 5, v[92:93]
	s_movk_i32 s29, 0x1a10
	v_add_co_u32_e32 v95, vcc, s10, v93
	v_addc_co_u32_e32 v96, vcc, v103, v94, vcc
	v_add_co_u32_e32 v93, vcc, s11, v95
	v_addc_co_u32_e32 v94, vcc, 0, v96, vcc
	;; [unrolled: 2-line block ×3, first 2 shown]
	global_load_dwordx4 v[132:135], v[95:96], off offset:656
	s_waitcnt vmcnt(0)
	buffer_store_dword v132, off, s[36:39], 0 offset:1412 ; 4-byte Folded Spill
	s_nop 0
	buffer_store_dword v133, off, s[36:39], 0 offset:1416 ; 4-byte Folded Spill
	buffer_store_dword v134, off, s[36:39], 0 offset:1420 ; 4-byte Folded Spill
	;; [unrolled: 1-line block ×3, first 2 shown]
	global_load_dwordx4 v[123:126], v[93:94], off offset:16
	s_waitcnt vmcnt(0)
	buffer_store_dword v123, off, s[36:39], 0 offset:1444 ; 4-byte Folded Spill
	s_nop 0
	buffer_store_dword v124, off, s[36:39], 0 offset:1448 ; 4-byte Folded Spill
	buffer_store_dword v125, off, s[36:39], 0 offset:1452 ; 4-byte Folded Spill
	;; [unrolled: 1-line block ×3, first 2 shown]
	v_mul_f64 v[95:96], v[157:158], v[134:135]
	v_mul_f64 v[93:94], v[159:160], v[134:135]
	v_fma_f64 v[99:100], v[159:160], v[132:133], v[95:96]
	v_fma_f64 v[93:94], v[157:158], v[132:133], -v[93:94]
	v_mul_f64 v[95:96], v[90:91], v[125:126]
	v_fma_f64 v[95:96], v[88:89], v[123:124], -v[95:96]
	v_mul_f64 v[88:89], v[88:89], v[125:126]
	v_fma_f64 v[88:89], v[90:91], v[123:124], v[88:89]
	v_add_co_u32_e32 v90, vcc, s29, v131
	v_addc_co_u32_e32 v91, vcc, 0, v148, vcc
	global_load_dwordx4 v[132:135], v[127:128], off offset:2576
	global_load_dwordx4 v[123:126], v[90:91], off offset:16
	s_movk_i32 s29, 0x2550
	s_waitcnt vmcnt(1)
	v_mul_f64 v[90:91], v[86:87], v[134:135]
	v_fma_f64 v[90:91], v[84:85], v[132:133], -v[90:91]
	buffer_store_dword v132, off, s[36:39], 0 offset:1476 ; 4-byte Folded Spill
	s_nop 0
	buffer_store_dword v133, off, s[36:39], 0 offset:1480 ; 4-byte Folded Spill
	buffer_store_dword v134, off, s[36:39], 0 offset:1484 ; 4-byte Folded Spill
	buffer_store_dword v135, off, s[36:39], 0 offset:1488 ; 4-byte Folded Spill
	s_waitcnt vmcnt(4)
	buffer_store_dword v123, off, s[36:39], 0 offset:1492 ; 4-byte Folded Spill
	s_nop 0
	buffer_store_dword v124, off, s[36:39], 0 offset:1496 ; 4-byte Folded Spill
	buffer_store_dword v125, off, s[36:39], 0 offset:1500 ; 4-byte Folded Spill
	;; [unrolled: 1-line block ×3, first 2 shown]
	v_mul_f64 v[84:85], v[84:85], v[134:135]
	v_fma_f64 v[136:137], v[86:87], v[132:133], v[84:85]
	v_mul_f64 v[84:85], v[82:83], v[125:126]
	v_fma_f64 v[132:133], v[80:81], v[123:124], -v[84:85]
	v_mul_f64 v[80:81], v[80:81], v[125:126]
	v_fma_f64 v[144:145], v[82:83], v[123:124], v[80:81]
	v_add_co_u32_e32 v80, vcc, s29, v131
	v_addc_co_u32_e32 v81, vcc, 0, v148, vcc
	v_add_co_u32_e32 v82, vcc, s28, v131
	v_addc_co_u32_e32 v83, vcc, 0, v148, vcc
	global_load_dwordx4 v[123:126], v[82:83], off offset:1360
	s_nop 0
	global_load_dwordx4 v[82:85], v[80:81], off offset:16
	s_waitcnt vmcnt(1) lgkmcnt(13)
	v_mul_f64 v[80:81], v[78:79], v[125:126]
	s_waitcnt vmcnt(0)
	v_mov_b32_e32 v87, v85
	v_mov_b32_e32 v86, v84
	;; [unrolled: 1-line block ×4, first 2 shown]
	v_fma_f64 v[80:81], v[76:77], v[123:124], -v[80:81]
	buffer_store_dword v123, off, s[36:39], 0 offset:1508 ; 4-byte Folded Spill
	s_nop 0
	buffer_store_dword v124, off, s[36:39], 0 offset:1512 ; 4-byte Folded Spill
	buffer_store_dword v125, off, s[36:39], 0 offset:1516 ; 4-byte Folded Spill
	;; [unrolled: 1-line block ×4, first 2 shown]
	s_nop 0
	buffer_store_dword v85, off, s[36:39], 0 offset:1528 ; 4-byte Folded Spill
	buffer_store_dword v86, off, s[36:39], 0 offset:1532 ; 4-byte Folded Spill
	;; [unrolled: 1-line block ×3, first 2 shown]
	v_mul_f64 v[76:77], v[76:77], v[125:126]
	v_fma_f64 v[123:124], v[78:79], v[123:124], v[76:77]
	s_waitcnt lgkmcnt(12)
	v_mul_f64 v[76:77], v[74:75], v[86:87]
	v_fma_f64 v[82:83], v[72:73], v[84:85], -v[76:77]
	v_mul_f64 v[72:73], v[72:73], v[86:87]
	v_fma_f64 v[138:139], v[74:75], v[84:85], v[72:73]
	v_lshrrev_b16_e32 v72, 2, v182
	v_mul_u32_u24_e32 v72, 0x6d3b, v72
	v_lshrrev_b32_e32 v157, 21, v72
	v_mul_lo_u16_e32 v72, 0x12c, v157
	v_sub_u16_e32 v158, v182, v72
	v_lshlrev_b16_e32 v72, 5, v158
	v_add_co_u32_e32 v74, vcc, s10, v72
	v_addc_co_u32_e32 v75, vcc, 0, v103, vcc
	v_add_co_u32_e32 v72, vcc, s11, v74
	v_addc_co_u32_e32 v73, vcc, 0, v75, vcc
	;; [unrolled: 2-line block ×3, first 2 shown]
	global_load_dwordx4 v[84:87], v[74:75], off offset:656
	s_nop 0
	global_load_dwordx4 v[74:77], v[72:73], off offset:16
	s_waitcnt vmcnt(1) lgkmcnt(10)
	v_mul_f64 v[72:73], v[70:71], v[86:87]
	s_waitcnt vmcnt(0)
	v_mov_b32_e32 v79, v77
	v_mov_b32_e32 v78, v76
	;; [unrolled: 1-line block ×4, first 2 shown]
	v_fma_f64 v[72:73], v[68:69], v[84:85], -v[72:73]
	buffer_store_dword v84, off, s[36:39], 0 offset:1552 ; 4-byte Folded Spill
	s_nop 0
	buffer_store_dword v85, off, s[36:39], 0 offset:1556 ; 4-byte Folded Spill
	buffer_store_dword v86, off, s[36:39], 0 offset:1560 ; 4-byte Folded Spill
	;; [unrolled: 1-line block ×4, first 2 shown]
	s_nop 0
	buffer_store_dword v77, off, s[36:39], 0 offset:1572 ; 4-byte Folded Spill
	buffer_store_dword v78, off, s[36:39], 0 offset:1576 ; 4-byte Folded Spill
	;; [unrolled: 1-line block ×3, first 2 shown]
	v_mul_f64 v[68:69], v[68:69], v[86:87]
	v_fma_f64 v[84:85], v[70:71], v[84:85], v[68:69]
	s_waitcnt lgkmcnt(9)
	v_mul_f64 v[68:69], v[66:67], v[78:79]
	v_fma_f64 v[74:75], v[64:65], v[76:77], -v[68:69]
	v_mul_f64 v[64:65], v[64:65], v[78:79]
	v_fma_f64 v[134:135], v[66:67], v[76:77], v[64:65]
	v_lshrrev_b16_e32 v64, 2, v184
	v_mul_u32_u24_e32 v64, 0x6d3b, v64
	v_lshrrev_b32_e32 v64, 21, v64
	v_mul_lo_u16_e32 v64, 0x12c, v64
	v_sub_u16_e32 v159, v184, v64
	v_lshlrev_b16_e32 v64, 5, v159
	v_add_co_u32_e32 v66, vcc, s10, v64
	v_addc_co_u32_e32 v67, vcc, 0, v103, vcc
	v_add_co_u32_e32 v64, vcc, s11, v66
	v_addc_co_u32_e32 v65, vcc, 0, v67, vcc
	;; [unrolled: 2-line block ×3, first 2 shown]
	global_load_dwordx4 v[236:239], v[66:67], off offset:656
	global_load_dwordx4 v[248:251], v[64:65], off offset:16
	s_waitcnt vmcnt(1) lgkmcnt(7)
	v_mul_f64 v[64:65], v[62:63], v[238:239]
	v_fma_f64 v[64:65], v[60:61], v[236:237], -v[64:65]
	v_mul_f64 v[60:61], v[60:61], v[238:239]
	v_fma_f64 v[76:77], v[62:63], v[236:237], v[60:61]
	s_waitcnt vmcnt(0) lgkmcnt(6)
	v_mul_f64 v[60:61], v[58:59], v[250:251]
	v_fma_f64 v[68:69], v[56:57], v[248:249], -v[60:61]
	v_mul_f64 v[56:57], v[56:57], v[250:251]
	v_fma_f64 v[125:126], v[58:59], v[248:249], v[56:57]
	v_lshrrev_b16_e32 v56, 2, v185
	v_mul_u32_u24_e32 v56, 0x6d3b, v56
	v_lshrrev_b32_e32 v56, 21, v56
	v_mul_lo_u16_e32 v56, 0x12c, v56
	v_sub_u16_e32 v160, v185, v56
	v_lshlrev_b16_e32 v56, 5, v160
	v_add_co_u32_e32 v58, vcc, s10, v56
	v_addc_co_u32_e32 v59, vcc, 0, v103, vcc
	v_add_co_u32_e32 v56, vcc, s11, v58
	v_addc_co_u32_e32 v57, vcc, 0, v59, vcc
	;; [unrolled: 2-line block ×3, first 2 shown]
	global_load_dwordx4 v[211:214], v[58:59], off offset:656
	global_load_dwordx4 v[215:218], v[56:57], off offset:16
	s_waitcnt vmcnt(1) lgkmcnt(4)
	v_mul_f64 v[56:57], v[54:55], v[213:214]
	v_fma_f64 v[58:59], v[52:53], v[211:212], -v[56:57]
	v_mul_f64 v[52:53], v[52:53], v[213:214]
	v_fma_f64 v[70:71], v[54:55], v[211:212], v[52:53]
	s_waitcnt vmcnt(0) lgkmcnt(3)
	v_mul_f64 v[52:53], v[50:51], v[217:218]
	v_add_f64 v[54:55], v[105:106], v[109:110]
	v_fma_f64 v[62:63], v[48:49], v[215:216], -v[52:53]
	v_mul_f64 v[48:49], v[48:49], v[217:218]
	v_fma_f64 v[86:87], v[50:51], v[215:216], v[48:49]
	v_lshrrev_b16_e32 v48, 2, v186
	v_mul_u32_u24_e32 v48, 0x6d3b, v48
	v_lshrrev_b32_e32 v48, 21, v48
	v_mul_lo_u16_e32 v48, 0x12c, v48
	v_sub_u16_e32 v161, v186, v48
	v_lshlrev_b16_e32 v48, 5, v161
	v_add_co_u32_e32 v50, vcc, s10, v48
	v_addc_co_u32_e32 v51, vcc, 0, v103, vcc
	v_add_co_u32_e32 v48, vcc, s11, v50
	v_addc_co_u32_e32 v49, vcc, 0, v51, vcc
	;; [unrolled: 2-line block ×3, first 2 shown]
	global_load_dwordx4 v[183:186], v[50:51], off offset:656
	global_load_dwordx4 v[191:194], v[48:49], off offset:16
	v_add_f64 v[50:51], v[97:98], v[101:102]
	s_waitcnt vmcnt(0) lgkmcnt(0)
	s_barrier
	v_cmp_lt_u16_e32 vcc, 29, v130
	s_movk_i32 s11, 0x384
	v_mul_f64 v[48:49], v[46:47], v[185:186]
	v_fma_f64 v[56:57], v[44:45], v[183:184], -v[48:49]
	v_mul_f64 v[44:45], v[44:45], v[185:186]
	v_add_f64 v[48:49], v[113:114], -v[117:118]
	v_fma_f64 v[66:67], v[46:47], v[183:184], v[44:45]
	v_mul_f64 v[44:45], v[42:43], v[193:194]
	v_add_f64 v[46:47], v[119:120], v[121:122]
	v_fma_f64 v[60:61], v[40:41], v[191:192], -v[44:45]
	v_mul_f64 v[40:41], v[40:41], v[193:194]
	v_fma_f64 v[78:79], v[42:43], v[191:192], v[40:41]
	v_add_f64 v[42:43], v[113:114], v[117:118]
	v_add_f64 v[40:41], v[36:37], v[113:114]
	v_fma_f64 v[36:37], v[42:43], -0.5, v[36:37]
	v_add_f64 v[42:43], v[119:120], -v[121:122]
	v_add_f64 v[40:41], v[40:41], v[117:118]
	v_fma_f64 v[44:45], v[42:43], s[4:5], v[36:37]
	v_fma_f64 v[36:37], v[42:43], s[2:3], v[36:37]
	v_add_f64 v[42:43], v[38:39], v[119:120]
	v_fma_f64 v[38:39], v[46:47], -0.5, v[38:39]
	v_add_f64 v[42:43], v[42:43], v[121:122]
	v_fma_f64 v[46:47], v[48:49], s[2:3], v[38:39]
	v_fma_f64 v[38:39], v[48:49], s[4:5], v[38:39]
	v_add_f64 v[48:49], v[32:33], v[97:98]
	v_fma_f64 v[32:33], v[50:51], -0.5, v[32:33]
	v_add_f64 v[50:51], v[105:106], -v[109:110]
	v_add_f64 v[97:98], v[97:98], -v[101:102]
	v_add_f64 v[48:49], v[48:49], v[101:102]
	v_add_f64 v[101:102], v[111:112], -v[115:116]
	v_fma_f64 v[52:53], v[50:51], s[4:5], v[32:33]
	v_fma_f64 v[32:33], v[50:51], s[2:3], v[32:33]
	v_add_f64 v[50:51], v[34:35], v[105:106]
	v_fma_f64 v[34:35], v[54:55], -0.5, v[34:35]
	v_add_f64 v[50:51], v[50:51], v[109:110]
	v_fma_f64 v[54:55], v[97:98], s[2:3], v[34:35]
	v_fma_f64 v[34:35], v[97:98], s[4:5], v[34:35]
	v_add_f64 v[97:98], v[28:29], v[146:147]
	v_add_f64 v[117:118], v[97:98], v[107:108]
	;; [unrolled: 1-line block ×3, first 2 shown]
	v_fma_f64 v[97:98], v[97:98], -0.5, v[28:29]
	v_fma_f64 v[28:29], v[101:102], s[4:5], v[97:98]
	v_fma_f64 v[105:106], v[101:102], s[2:3], v[97:98]
	v_add_f64 v[97:98], v[30:31], v[111:112]
	v_add_f64 v[101:102], v[146:147], -v[107:108]
	v_add_f64 v[119:120], v[97:98], v[115:116]
	v_add_f64 v[97:98], v[111:112], v[115:116]
	v_add_f64 v[115:116], v[123:124], -v[138:139]
	v_fma_f64 v[97:98], v[97:98], -0.5, v[30:31]
	v_fma_f64 v[30:31], v[101:102], s[2:3], v[97:98]
	v_fma_f64 v[107:108], v[101:102], s[4:5], v[97:98]
	v_add_f64 v[97:98], v[24:25], v[93:94]
	v_add_f64 v[101:102], v[99:100], -v[88:89]
	ds_write_b128 v104, v[40:43]
	ds_write_b128 v104, v[44:47] offset:4800
	ds_write_b128 v104, v[36:39] offset:9600
	;; [unrolled: 1-line block ×8, first 2 shown]
	v_mov_b32_e32 v28, 0x384
	v_cndmask_b32_e32 v28, 0, v28, vcc
	v_add_lshl_u32 v28, v92, v28, 4
	buffer_store_dword v28, off, s[36:39], 0 offset:1652 ; 4-byte Folded Spill
	v_add_f64 v[109:110], v[97:98], v[95:96]
	v_add_f64 v[97:98], v[93:94], v[95:96]
	v_add_f64 v[93:94], v[93:94], -v[95:96]
	v_add_f64 v[95:96], v[136:137], -v[144:145]
	v_fma_f64 v[97:98], v[97:98], -0.5, v[24:25]
	v_fma_f64 v[24:25], v[101:102], s[4:5], v[97:98]
	v_fma_f64 v[97:98], v[101:102], s[2:3], v[97:98]
	v_add_f64 v[101:102], v[26:27], v[99:100]
	v_add_f64 v[111:112], v[101:102], v[88:89]
	;; [unrolled: 1-line block ×4, first 2 shown]
	v_fma_f64 v[88:89], v[88:89], -0.5, v[26:27]
	v_fma_f64 v[101:102], v[101:102], -0.5, v[22:23]
	v_fma_f64 v[26:27], v[93:94], s[2:3], v[88:89]
	v_fma_f64 v[99:100], v[93:94], s[4:5], v[88:89]
	v_add_f64 v[88:89], v[20:21], v[90:91]
	v_add_f64 v[93:94], v[88:89], v[132:133]
	;; [unrolled: 1-line block ×3, first 2 shown]
	v_add_f64 v[90:91], v[90:91], -v[132:133]
	v_fma_f64 v[88:89], v[88:89], -0.5, v[20:21]
	v_fma_f64 v[20:21], v[95:96], s[4:5], v[88:89]
	v_fma_f64 v[88:89], v[95:96], s[2:3], v[88:89]
	v_add_f64 v[95:96], v[22:23], v[136:137]
	v_fma_f64 v[22:23], v[90:91], s[2:3], v[101:102]
	v_fma_f64 v[90:91], v[90:91], s[4:5], v[101:102]
	v_add_f64 v[101:102], v[16:17], v[80:81]
	v_add_f64 v[95:96], v[95:96], v[144:145]
	v_add_f64 v[113:114], v[101:102], v[82:83]
	v_add_f64 v[101:102], v[80:81], v[82:83]
	v_add_f64 v[80:81], v[80:81], -v[82:83]
	v_add_f64 v[82:83], v[72:73], v[74:75]
	v_fma_f64 v[101:102], v[101:102], -0.5, v[16:17]
	v_fma_f64 v[82:83], v[82:83], -0.5, v[12:13]
	v_fma_f64 v[16:17], v[115:116], s[4:5], v[101:102]
	v_fma_f64 v[121:122], v[115:116], s[2:3], v[101:102]
	v_add_f64 v[101:102], v[18:19], v[123:124]
	v_add_f64 v[115:116], v[101:102], v[138:139]
	;; [unrolled: 1-line block ×3, first 2 shown]
	v_fma_f64 v[101:102], v[101:102], -0.5, v[18:19]
	v_fma_f64 v[18:19], v[80:81], s[2:3], v[101:102]
	v_fma_f64 v[123:124], v[80:81], s[4:5], v[101:102]
	v_add_f64 v[101:102], v[84:85], -v[134:135]
	v_add_f64 v[80:81], v[12:13], v[72:73]
	v_add_f64 v[72:73], v[72:73], -v[74:75]
	ds_write_b128 v28, v[109:112]
	ds_write_b128 v28, v[24:27] offset:4800
	ds_write_b128 v28, v[97:100] offset:9600
	;; [unrolled: 1-line block ×8, first 2 shown]
	v_mad_legacy_u16 v16, v157, s11, v158
	v_lshlrev_b32_e32 v16, 4, v16
	buffer_store_dword v16, off, s[36:39], 0 offset:1616 ; 4-byte Folded Spill
	s_movk_i32 s11, 0x3810
	v_fma_f64 v[12:13], v[101:102], s[4:5], v[82:83]
	v_fma_f64 v[132:133], v[101:102], s[2:3], v[82:83]
	v_add_f64 v[82:83], v[14:15], v[84:85]
	v_add_f64 v[84:85], v[84:85], v[134:135]
	;; [unrolled: 1-line block ×4, first 2 shown]
	v_lshlrev_b32_e32 v102, 5, v171
	v_add_f64 v[82:83], v[82:83], v[134:135]
	v_fma_f64 v[84:85], v[84:85], -0.5, v[14:15]
	v_fma_f64 v[74:75], v[74:75], -0.5, v[8:9]
	v_fma_f64 v[14:15], v[72:73], s[2:3], v[84:85]
	v_fma_f64 v[134:135], v[72:73], s[4:5], v[84:85]
	v_add_f64 v[84:85], v[76:77], -v[125:126]
	v_add_f64 v[72:73], v[8:9], v[64:65]
	v_add_f64 v[64:65], v[64:65], -v[68:69]
	ds_write_b128 v16, v[80:83]
	ds_write_b128 v16, v[12:15] offset:4800
	ds_write_b128 v16, v[132:135] offset:9600
	v_lshlrev_b32_e32 v12, 4, v159
	buffer_store_dword v12, off, s[36:39], 0 offset:1540 ; 4-byte Folded Spill
	v_fma_f64 v[8:9], v[84:85], s[4:5], v[74:75]
	v_fma_f64 v[136:137], v[84:85], s[2:3], v[74:75]
	v_add_f64 v[74:75], v[10:11], v[76:77]
	v_add_f64 v[76:77], v[76:77], v[125:126]
	;; [unrolled: 1-line block ×3, first 2 shown]
	v_add_f64 v[68:69], v[70:71], -v[86:87]
	v_add_f64 v[74:75], v[74:75], v[125:126]
	v_fma_f64 v[76:77], v[76:77], -0.5, v[10:11]
	v_fma_f64 v[10:11], v[64:65], s[2:3], v[76:77]
	v_fma_f64 v[138:139], v[64:65], s[4:5], v[76:77]
	v_add_f64 v[64:65], v[4:5], v[58:59]
	ds_write_b128 v12, v[72:75] offset:28800
	ds_write_b128 v12, v[8:11] offset:33600
	;; [unrolled: 1-line block ×3, first 2 shown]
	v_lshlrev_b32_e32 v8, 4, v160
	buffer_store_dword v8, off, s[36:39], 0 offset:1544 ; 4-byte Folded Spill
	v_add_f64 v[144:145], v[64:65], v[62:63]
	v_add_f64 v[64:65], v[58:59], v[62:63]
	v_add_f64 v[58:59], v[58:59], -v[62:63]
	v_fma_f64 v[64:65], v[64:65], -0.5, v[4:5]
	v_fma_f64 v[4:5], v[68:69], s[4:5], v[64:65]
	v_fma_f64 v[68:69], v[68:69], s[2:3], v[64:65]
	v_add_f64 v[64:65], v[6:7], v[70:71]
	v_add_f64 v[146:147], v[64:65], v[86:87]
	;; [unrolled: 1-line block ×3, first 2 shown]
	v_fma_f64 v[64:65], v[64:65], -0.5, v[6:7]
	v_fma_f64 v[6:7], v[58:59], s[2:3], v[64:65]
	v_fma_f64 v[70:71], v[58:59], s[4:5], v[64:65]
	v_add_f64 v[58:59], v[0:1], v[56:57]
	v_add_f64 v[64:65], v[66:67], -v[78:79]
	ds_write_b128 v8, v[144:147] offset:28800
	ds_write_b128 v8, v[4:7] offset:33600
	;; [unrolled: 1-line block ×3, first 2 shown]
	v_lshlrev_b32_e32 v4, 4, v161
	buffer_store_dword v4, off, s[36:39], 0 offset:1548 ; 4-byte Folded Spill
	v_add_f64 v[62:63], v[58:59], v[60:61]
	v_add_f64 v[58:59], v[56:57], v[60:61]
	v_add_f64 v[56:57], v[56:57], -v[60:61]
	v_fma_f64 v[58:59], v[58:59], -0.5, v[0:1]
	v_fma_f64 v[0:1], v[64:65], s[4:5], v[58:59]
	v_fma_f64 v[58:59], v[64:65], s[2:3], v[58:59]
	v_add_f64 v[64:65], v[2:3], v[66:67]
	v_add_f64 v[66:67], v[66:67], v[78:79]
	;; [unrolled: 1-line block ×3, first 2 shown]
	v_fma_f64 v[66:67], v[66:67], -0.5, v[2:3]
	v_fma_f64 v[2:3], v[56:57], s[2:3], v[66:67]
	v_fma_f64 v[60:61], v[56:57], s[4:5], v[66:67]
	ds_write_b128 v4, v[62:65] offset:28800
	ds_write_b128 v4, v[0:3] offset:33600
	;; [unrolled: 1-line block ×3, first 2 shown]
	v_add_co_u32_e32 v0, vcc, s11, v131
	v_addc_co_u32_e32 v1, vcc, 0, v148, vcc
	v_add_co_u32_e32 v2, vcc, s26, v131
	v_addc_co_u32_e32 v3, vcc, 0, v148, vcc
	s_waitcnt vmcnt(0) lgkmcnt(0)
	s_barrier
	ds_read_b128 v[36:39], v104
	ds_read_b128 v[92:95], v104 offset:14400
	ds_read_b128 v[96:99], v104 offset:28800
	;; [unrolled: 1-line block ×29, first 2 shown]
	global_load_dwordx4 v[134:137], v[2:3], off offset:2064
	s_waitcnt vmcnt(0)
	buffer_store_dword v134, off, s[36:39], 0 offset:1600 ; 4-byte Folded Spill
	s_nop 0
	buffer_store_dword v135, off, s[36:39], 0 offset:1604 ; 4-byte Folded Spill
	buffer_store_dword v136, off, s[36:39], 0 offset:1608 ; 4-byte Folded Spill
	;; [unrolled: 1-line block ×3, first 2 shown]
	global_load_dwordx4 v[130:133], v[0:1], off offset:16
	s_waitcnt vmcnt(0)
	buffer_store_dword v130, off, s[36:39], 0 offset:1584 ; 4-byte Folded Spill
	s_nop 0
	buffer_store_dword v131, off, s[36:39], 0 offset:1588 ; 4-byte Folded Spill
	buffer_store_dword v132, off, s[36:39], 0 offset:1592 ; 4-byte Folded Spill
	;; [unrolled: 1-line block ×3, first 2 shown]
	s_waitcnt lgkmcnt(14)
	v_mul_f64 v[0:1], v[94:95], v[136:137]
	v_mul_f64 v[2:3], v[92:93], v[136:137]
	v_fma_f64 v[0:1], v[92:93], v[134:135], -v[0:1]
	v_fma_f64 v[2:3], v[94:95], v[134:135], v[2:3]
	v_mul_f64 v[92:93], v[98:99], v[132:133]
	v_mul_f64 v[94:95], v[96:97], v[132:133]
	v_fma_f64 v[92:93], v[96:97], v[130:131], -v[92:93]
	v_add_co_u32_e32 v96, vcc, s11, v149
	v_addc_co_u32_e32 v97, vcc, 0, v150, vcc
	v_fma_f64 v[94:95], v[98:99], v[130:131], v[94:95]
	v_add_co_u32_e32 v98, vcc, s26, v149
	v_addc_co_u32_e32 v99, vcc, 0, v150, vcc
	global_load_dwordx4 v[98:101], v[98:99], off offset:2064
	s_nop 0
	global_load_dwordx4 v[130:133], v[96:97], off offset:16
	s_waitcnt vmcnt(1)
	v_mov_b32_e32 v137, v101
	v_mov_b32_e32 v136, v100
	;; [unrolled: 1-line block ×4, first 2 shown]
	buffer_store_dword v134, off, s[36:39], 0 offset:1636 ; 4-byte Folded Spill
	s_nop 0
	buffer_store_dword v135, off, s[36:39], 0 offset:1640 ; 4-byte Folded Spill
	buffer_store_dword v136, off, s[36:39], 0 offset:1644 ; 4-byte Folded Spill
	;; [unrolled: 1-line block ×3, first 2 shown]
	s_waitcnt vmcnt(4)
	buffer_store_dword v130, off, s[36:39], 0 offset:1620 ; 4-byte Folded Spill
	s_nop 0
	buffer_store_dword v131, off, s[36:39], 0 offset:1624 ; 4-byte Folded Spill
	buffer_store_dword v132, off, s[36:39], 0 offset:1628 ; 4-byte Folded Spill
	;; [unrolled: 1-line block ×3, first 2 shown]
	v_mul_f64 v[96:97], v[108:109], v[100:101]
	v_fma_f64 v[96:97], v[106:107], v[98:99], -v[96:97]
	v_mul_f64 v[98:99], v[106:107], v[136:137]
	v_mul_f64 v[100:101], v[112:113], v[132:133]
	;; [unrolled: 1-line block ×3, first 2 shown]
	v_fma_f64 v[98:99], v[108:109], v[134:135], v[98:99]
	v_add_co_u32_e32 v108, vcc, s11, v151
	v_addc_co_u32_e32 v109, vcc, 0, v156, vcc
	v_fma_f64 v[100:101], v[110:111], v[130:131], -v[100:101]
	v_add_co_u32_e32 v110, vcc, s26, v151
	v_addc_co_u32_e32 v111, vcc, 0, v156, vcc
	global_load_dwordx4 v[232:235], v[110:111], off offset:2064
	global_load_dwordx4 v[244:247], v[108:109], off offset:16
	v_fma_f64 v[106:107], v[112:113], v[130:131], v[106:107]
	v_add_co_u32_e32 v102, vcc, s10, v102
	v_addc_co_u32_e32 v105, vcc, 0, v103, vcc
	s_waitcnt vmcnt(1)
	v_mul_f64 v[110:111], v[114:115], v[234:235]
	v_mul_f64 v[108:109], v[116:117], v[234:235]
	s_waitcnt vmcnt(0)
	v_mul_f64 v[112:113], v[120:121], v[246:247]
	v_fma_f64 v[110:111], v[116:117], v[232:233], v[110:111]
	v_add_co_u32_e32 v116, vcc, s11, v102
	v_addc_co_u32_e32 v117, vcc, 0, v105, vcc
	v_fma_f64 v[108:109], v[114:115], v[232:233], -v[108:109]
	v_fma_f64 v[112:113], v[118:119], v[244:245], -v[112:113]
	v_mul_f64 v[114:115], v[118:119], v[246:247]
	v_add_co_u32_e32 v118, vcc, s26, v102
	v_addc_co_u32_e32 v119, vcc, 0, v105, vcc
	global_load_dwordx4 v[224:227], v[118:119], off offset:2064
	global_load_dwordx4 v[228:231], v[116:117], off offset:16
	v_fma_f64 v[114:115], v[120:121], v[244:245], v[114:115]
	s_waitcnt vmcnt(1)
	v_mul_f64 v[116:117], v[124:125], v[226:227]
	s_waitcnt vmcnt(0)
	v_mul_f64 v[120:121], v[90:91], v[230:231]
	v_mul_f64 v[118:119], v[122:123], v[226:227]
	v_fma_f64 v[116:117], v[122:123], v[224:225], -v[116:117]
	v_fma_f64 v[120:121], v[88:89], v[228:229], -v[120:121]
	v_mul_f64 v[88:89], v[88:89], v[230:231]
	v_fma_f64 v[118:119], v[124:125], v[224:225], v[118:119]
	v_fma_f64 v[122:123], v[90:91], v[228:229], v[88:89]
	v_lshlrev_b32_e32 v88, 5, v179
	v_add_co_u32_e32 v90, vcc, s10, v88
	v_addc_co_u32_e32 v91, vcc, 0, v103, vcc
	v_add_co_u32_e32 v88, vcc, s11, v90
	v_addc_co_u32_e32 v89, vcc, 0, v91, vcc
	v_add_co_u32_e32 v90, vcc, s26, v90
	v_addc_co_u32_e32 v91, vcc, 0, v91, vcc
	global_load_dwordx4 v[207:210], v[90:91], off offset:2064
	global_load_dwordx4 v[220:223], v[88:89], off offset:16
	s_waitcnt vmcnt(1)
	v_mul_f64 v[88:89], v[86:87], v[209:210]
	v_fma_f64 v[88:89], v[84:85], v[207:208], -v[88:89]
	v_mul_f64 v[84:85], v[84:85], v[209:210]
	v_fma_f64 v[124:125], v[86:87], v[207:208], v[84:85]
	s_waitcnt vmcnt(0)
	v_mul_f64 v[84:85], v[82:83], v[222:223]
	v_fma_f64 v[130:131], v[80:81], v[220:221], -v[84:85]
	v_mul_f64 v[80:81], v[80:81], v[222:223]
	v_fma_f64 v[152:153], v[82:83], v[220:221], v[80:81]
	v_lshlrev_b32_e32 v80, 5, v181
	v_add_co_u32_e32 v82, vcc, s10, v80
	v_addc_co_u32_e32 v83, vcc, 0, v103, vcc
	v_add_co_u32_e32 v80, vcc, s11, v82
	v_addc_co_u32_e32 v81, vcc, 0, v83, vcc
	v_add_co_u32_e32 v82, vcc, s26, v82
	v_addc_co_u32_e32 v83, vcc, 0, v83, vcc
	global_load_dwordx4 v[199:202], v[82:83], off offset:2064
	global_load_dwordx4 v[203:206], v[80:81], off offset:16
	s_waitcnt vmcnt(1) lgkmcnt(13)
	v_mul_f64 v[80:81], v[78:79], v[201:202]
	v_fma_f64 v[80:81], v[76:77], v[199:200], -v[80:81]
	v_mul_f64 v[76:77], v[76:77], v[201:202]
	v_fma_f64 v[154:155], v[78:79], v[199:200], v[76:77]
	s_waitcnt vmcnt(0) lgkmcnt(12)
	v_mul_f64 v[76:77], v[74:75], v[205:206]
	v_fma_f64 v[90:91], v[72:73], v[203:204], -v[76:77]
	v_mul_f64 v[72:73], v[72:73], v[205:206]
	v_fma_f64 v[160:161], v[74:75], v[203:204], v[72:73]
	v_lshlrev_b32_e32 v72, 5, v182
	v_add_co_u32_e32 v74, vcc, s10, v72
	v_addc_co_u32_e32 v75, vcc, 0, v103, vcc
	v_add_co_u32_e32 v72, vcc, s11, v74
	v_addc_co_u32_e32 v73, vcc, 0, v75, vcc
	v_add_co_u32_e32 v74, vcc, s26, v74
	v_addc_co_u32_e32 v75, vcc, 0, v75, vcc
	global_load_dwordx4 v[187:190], v[74:75], off offset:2064
	global_load_dwordx4 v[195:198], v[72:73], off offset:16
	s_waitcnt vmcnt(1) lgkmcnt(10)
	v_mul_f64 v[72:73], v[70:71], v[189:190]
	v_fma_f64 v[72:73], v[68:69], v[187:188], -v[72:73]
	v_mul_f64 v[68:69], v[68:69], v[189:190]
	v_fma_f64 v[84:85], v[70:71], v[187:188], v[68:69]
	s_waitcnt vmcnt(0) lgkmcnt(9)
	;; [unrolled: 19-line block ×4, first 2 shown]
	v_mul_f64 v[52:53], v[50:51], v[158:159]
	v_fma_f64 v[66:67], v[48:49], v[156:157], -v[52:53]
	v_mul_f64 v[48:49], v[48:49], v[158:159]
	v_fma_f64 v[78:79], v[50:51], v[156:157], v[48:49]
	v_lshlrev_b32_e32 v48, 5, v170
	v_add_co_u32_e32 v50, vcc, s10, v48
	v_addc_co_u32_e32 v51, vcc, 0, v103, vcc
	v_add_co_u32_e32 v48, vcc, s11, v50
	v_addc_co_u32_e32 v49, vcc, 0, v51, vcc
	;; [unrolled: 2-line block ×3, first 2 shown]
	global_load_dwordx4 v[136:139], v[50:51], off offset:2064
	global_load_dwordx4 v[144:147], v[48:49], off offset:16
	s_mov_b32 s10, 0xa8c0
	s_waitcnt vmcnt(1) lgkmcnt(1)
	v_mul_f64 v[48:49], v[46:47], v[138:139]
	v_fma_f64 v[56:57], v[44:45], v[136:137], -v[48:49]
	v_mul_f64 v[44:45], v[44:45], v[138:139]
	v_fma_f64 v[62:63], v[46:47], v[136:137], v[44:45]
	s_waitcnt vmcnt(0) lgkmcnt(0)
	v_mul_f64 v[44:45], v[42:43], v[146:147]
	v_fma_f64 v[58:59], v[40:41], v[144:145], -v[44:45]
	v_mul_f64 v[40:41], v[40:41], v[146:147]
	v_fma_f64 v[68:69], v[42:43], v[144:145], v[40:41]
	v_add_f64 v[42:43], v[0:1], v[92:93]
	v_add_f64 v[40:41], v[36:37], v[0:1]
	v_add_f64 v[0:1], v[0:1], -v[92:93]
	v_fma_f64 v[36:37], v[42:43], -0.5, v[36:37]
	v_add_f64 v[42:43], v[2:3], -v[94:95]
	v_add_f64 v[40:41], v[40:41], v[92:93]
	v_fma_f64 v[44:45], v[42:43], s[4:5], v[36:37]
	v_fma_f64 v[36:37], v[42:43], s[2:3], v[36:37]
	v_add_f64 v[42:43], v[38:39], v[2:3]
	v_add_f64 v[2:3], v[2:3], v[94:95]
	;; [unrolled: 1-line block ×3, first 2 shown]
	v_fma_f64 v[2:3], v[2:3], -0.5, v[38:39]
	v_fma_f64 v[46:47], v[0:1], s[2:3], v[2:3]
	v_fma_f64 v[38:39], v[0:1], s[4:5], v[2:3]
	v_add_f64 v[0:1], v[32:33], v[96:97]
	v_add_f64 v[2:3], v[98:99], -v[106:107]
	v_add_f64 v[48:49], v[0:1], v[100:101]
	v_add_f64 v[0:1], v[96:97], v[100:101]
	v_fma_f64 v[0:1], v[0:1], -0.5, v[32:33]
	v_fma_f64 v[52:53], v[2:3], s[4:5], v[0:1]
	v_fma_f64 v[32:33], v[2:3], s[2:3], v[0:1]
	v_add_f64 v[0:1], v[34:35], v[98:99]
	v_add_f64 v[2:3], v[96:97], -v[100:101]
	v_add_f64 v[50:51], v[0:1], v[106:107]
	v_add_f64 v[0:1], v[98:99], v[106:107]
	;; [unrolled: 7-line block ×11, first 2 shown]
	v_fma_f64 v[0:1], v[0:1], -0.5, v[12:13]
	v_fma_f64 v[12:13], v[2:3], s[4:5], v[0:1]
	v_fma_f64 v[80:81], v[2:3], s[2:3], v[0:1]
	v_add_f64 v[0:1], v[14:15], v[84:85]
	v_add_f64 v[2:3], v[72:73], -v[82:83]
	v_add_f64 v[72:73], v[76:77], -v[86:87]
	v_add_f64 v[124:125], v[0:1], v[163:164]
	v_add_f64 v[0:1], v[84:85], v[163:164]
	v_fma_f64 v[0:1], v[0:1], -0.5, v[14:15]
	v_fma_f64 v[14:15], v[2:3], s[2:3], v[0:1]
	v_fma_f64 v[82:83], v[2:3], s[4:5], v[0:1]
	v_add_f64 v[2:3], v[64:65], v[74:75]
	v_add_f64 v[0:1], v[8:9], v[64:65]
	v_add_f64 v[64:65], v[64:65], -v[74:75]
	v_fma_f64 v[2:3], v[2:3], -0.5, v[8:9]
	v_add_f64 v[0:1], v[0:1], v[74:75]
	v_fma_f64 v[8:9], v[72:73], s[4:5], v[2:3]
	v_fma_f64 v[72:73], v[72:73], s[2:3], v[2:3]
	v_add_f64 v[2:3], v[10:11], v[76:77]
	v_add_f64 v[76:77], v[76:77], v[86:87]
	;; [unrolled: 1-line block ×3, first 2 shown]
	v_fma_f64 v[76:77], v[76:77], -0.5, v[10:11]
	v_fma_f64 v[10:11], v[64:65], s[2:3], v[76:77]
	v_fma_f64 v[74:75], v[64:65], s[4:5], v[76:77]
	v_add_f64 v[64:65], v[4:5], v[60:61]
	v_add_f64 v[76:77], v[70:71], -v[78:79]
	v_add_f64 v[84:85], v[64:65], v[66:67]
	v_add_f64 v[64:65], v[60:61], v[66:67]
	v_add_f64 v[60:61], v[60:61], -v[66:67]
	v_fma_f64 v[64:65], v[64:65], -0.5, v[4:5]
	v_fma_f64 v[4:5], v[76:77], s[4:5], v[64:65]
	v_fma_f64 v[64:65], v[76:77], s[2:3], v[64:65]
	v_add_f64 v[76:77], v[6:7], v[70:71]
	v_add_f64 v[70:71], v[70:71], v[78:79]
	;; [unrolled: 1-line block ×3, first 2 shown]
	v_fma_f64 v[70:71], v[70:71], -0.5, v[6:7]
	v_add_f64 v[78:79], v[62:63], -v[68:69]
	v_fma_f64 v[6:7], v[60:61], s[2:3], v[70:71]
	v_fma_f64 v[66:67], v[60:61], s[4:5], v[70:71]
	v_add_f64 v[60:61], v[126:127], v[56:57]
	v_add_f64 v[76:77], v[60:61], v[58:59]
	;; [unrolled: 1-line block ×3, first 2 shown]
	v_add_f64 v[56:57], v[56:57], -v[58:59]
	v_fma_f64 v[70:71], v[60:61], -0.5, v[126:127]
	v_fma_f64 v[60:61], v[78:79], s[4:5], v[70:71]
	v_fma_f64 v[126:127], v[78:79], s[2:3], v[70:71]
	v_add_f64 v[70:71], v[128:129], v[62:63]
	v_add_f64 v[62:63], v[62:63], v[68:69]
	;; [unrolled: 1-line block ×3, first 2 shown]
	v_fma_f64 v[68:69], v[62:63], -0.5, v[128:129]
	v_fma_f64 v[62:63], v[56:57], s[2:3], v[68:69]
	v_fma_f64 v[128:129], v[56:57], s[4:5], v[68:69]
	ds_write_b128 v104, v[40:43]
	ds_write_b128 v104, v[44:47] offset:14400
	ds_write_b128 v104, v[36:39] offset:28800
	;; [unrolled: 1-line block ×29, first 2 shown]
	s_waitcnt lgkmcnt(0)
	s_barrier
	ds_read_b128 v[0:3], v104
	buffer_load_dword v4, off, s[36:39], 0 offset:1656 ; 4-byte Folded Reload
	buffer_load_dword v5, off, s[36:39], 0 offset:1660 ; 4-byte Folded Reload
	v_add_co_u32_e32 v12, vcc, s10, v166
	v_addc_co_u32_e32 v13, vcc, 0, v219, vcc
	s_mov_b32 s10, 0xe000
	v_add_co_u32_e32 v14, vcc, s10, v166
	v_addc_co_u32_e32 v15, vcc, 0, v219, vcc
	s_mov_b32 s10, 0x11000
	;; [unrolled: 3-line block ×3, first 2 shown]
	s_waitcnt vmcnt(0)
	global_load_dwordx4 v[4:7], v[4:5], off offset:2240
	s_waitcnt vmcnt(0) lgkmcnt(0)
	v_mul_f64 v[8:9], v[2:3], v[6:7]
	v_fma_f64 v[8:9], v[0:1], v[4:5], -v[8:9]
	v_mul_f64 v[0:1], v[0:1], v[6:7]
	v_fma_f64 v[10:11], v[2:3], v[4:5], v[0:1]
	global_load_dwordx4 v[4:7], v[14:15], off offset:256
	ds_read_b128 v[0:3], v104 offset:14400
	ds_write_b128 v104, v[8:11]
	s_waitcnt vmcnt(0) lgkmcnt(1)
	v_mul_f64 v[8:9], v[2:3], v[6:7]
	v_fma_f64 v[8:9], v[0:1], v[4:5], -v[8:9]
	v_mul_f64 v[0:1], v[0:1], v[6:7]
	v_fma_f64 v[10:11], v[2:3], v[4:5], v[0:1]
	global_load_dwordx4 v[4:7], v[16:17], off offset:2368
	ds_read_b128 v[0:3], v104 offset:28800
	ds_write_b128 v104, v[8:11] offset:14400
	s_waitcnt vmcnt(0) lgkmcnt(1)
	v_mul_f64 v[8:9], v[2:3], v[6:7]
	v_fma_f64 v[8:9], v[0:1], v[4:5], -v[8:9]
	v_mul_f64 v[0:1], v[0:1], v[6:7]
	v_fma_f64 v[10:11], v[2:3], v[4:5], v[0:1]
	global_load_dwordx4 v[4:7], v[12:13], off offset:1440
	ds_read_b128 v[0:3], v104 offset:1440
	ds_write_b128 v104, v[8:11] offset:28800
	;; [unrolled: 8-line block ×4, first 2 shown]
	s_waitcnt vmcnt(0) lgkmcnt(1)
	v_mul_f64 v[8:9], v[2:3], v[6:7]
	v_fma_f64 v[8:9], v[0:1], v[4:5], -v[8:9]
	v_mul_f64 v[0:1], v[0:1], v[6:7]
	v_fma_f64 v[10:11], v[2:3], v[4:5], v[0:1]
	global_load_dwordx4 v[4:7], v[12:13], off offset:2880
	ds_read_b128 v[0:3], v104 offset:2880
	v_add_co_u32_e32 v12, vcc, s10, v166
	v_addc_co_u32_e32 v13, vcc, 0, v219, vcc
	s_mov_b32 s10, 0xb000
	ds_write_b128 v104, v[8:11] offset:30240
	s_waitcnt vmcnt(0) lgkmcnt(1)
	v_mul_f64 v[8:9], v[2:3], v[6:7]
	v_fma_f64 v[8:9], v[0:1], v[4:5], -v[8:9]
	v_mul_f64 v[0:1], v[0:1], v[6:7]
	v_fma_f64 v[10:11], v[2:3], v[4:5], v[0:1]
	global_load_dwordx4 v[4:7], v[14:15], off offset:3136
	ds_read_b128 v[0:3], v104 offset:17280
	v_add_co_u32_e32 v14, vcc, s10, v166
	v_addc_co_u32_e32 v15, vcc, 0, v219, vcc
	s_mov_b32 s10, 0xf000
	ds_write_b128 v104, v[8:11] offset:2880
	v_add_co_u32_e32 v18, vcc, s10, v166
	v_addc_co_u32_e32 v19, vcc, 0, v219, vcc
	s_mov_b32 s10, 0xc000
	s_waitcnt vmcnt(0) lgkmcnt(1)
	v_mul_f64 v[8:9], v[2:3], v[6:7]
	v_fma_f64 v[8:9], v[0:1], v[4:5], -v[8:9]
	v_mul_f64 v[0:1], v[0:1], v[6:7]
	v_fma_f64 v[10:11], v[2:3], v[4:5], v[0:1]
	global_load_dwordx4 v[4:7], v[12:13], off offset:1152
	ds_read_b128 v[0:3], v104 offset:31680
	ds_write_b128 v104, v[8:11] offset:17280
	s_waitcnt vmcnt(0) lgkmcnt(1)
	v_mul_f64 v[8:9], v[2:3], v[6:7]
	v_fma_f64 v[8:9], v[0:1], v[4:5], -v[8:9]
	v_mul_f64 v[0:1], v[0:1], v[6:7]
	v_fma_f64 v[10:11], v[2:3], v[4:5], v[0:1]
	global_load_dwordx4 v[4:7], v[14:15], off offset:2464
	ds_read_b128 v[0:3], v104 offset:4320
	ds_write_b128 v104, v[8:11] offset:31680
	;; [unrolled: 8-line block ×6, first 2 shown]
	s_waitcnt vmcnt(0) lgkmcnt(1)
	v_mul_f64 v[8:9], v[2:3], v[6:7]
	v_fma_f64 v[8:9], v[0:1], v[4:5], -v[8:9]
	v_mul_f64 v[0:1], v[0:1], v[6:7]
	v_fma_f64 v[10:11], v[2:3], v[4:5], v[0:1]
	global_load_dwordx4 v[4:7], v[12:13], off offset:4032
	ds_read_b128 v[0:3], v104 offset:34560
	v_add_co_u32_e32 v12, vcc, s10, v166
	v_addc_co_u32_e32 v13, vcc, 0, v219, vcc
	s_mov_b32 s10, 0x13000
	ds_write_b128 v104, v[8:11] offset:20160
	v_add_co_u32_e32 v14, vcc, s10, v166
	v_addc_co_u32_e32 v15, vcc, 0, v219, vcc
	s_mov_b32 s10, 0x10000
	s_waitcnt vmcnt(0) lgkmcnt(1)
	v_mul_f64 v[8:9], v[2:3], v[6:7]
	v_fma_f64 v[8:9], v[0:1], v[4:5], -v[8:9]
	v_mul_f64 v[0:1], v[0:1], v[6:7]
	v_fma_f64 v[10:11], v[2:3], v[4:5], v[0:1]
	global_load_dwordx4 v[4:7], v[12:13], off offset:1248
	ds_read_b128 v[0:3], v104 offset:7200
	ds_write_b128 v104, v[8:11] offset:34560
	s_waitcnt vmcnt(0) lgkmcnt(1)
	v_mul_f64 v[8:9], v[2:3], v[6:7]
	v_fma_f64 v[8:9], v[0:1], v[4:5], -v[8:9]
	v_mul_f64 v[0:1], v[0:1], v[6:7]
	v_fma_f64 v[10:11], v[2:3], v[4:5], v[0:1]
	global_load_dwordx4 v[4:7], v[18:19], off offset:3360
	ds_read_b128 v[0:3], v104 offset:21600
	v_add_co_u32_e32 v18, vcc, s10, v166
	v_addc_co_u32_e32 v19, vcc, 0, v219, vcc
	s_mov_b32 s10, 0xd000
	ds_write_b128 v104, v[8:11] offset:7200
	s_waitcnt vmcnt(0) lgkmcnt(1)
	v_mul_f64 v[8:9], v[2:3], v[6:7]
	v_fma_f64 v[8:9], v[0:1], v[4:5], -v[8:9]
	v_mul_f64 v[0:1], v[0:1], v[6:7]
	v_fma_f64 v[10:11], v[2:3], v[4:5], v[0:1]
	global_load_dwordx4 v[4:7], v[14:15], off offset:1376
	ds_read_b128 v[0:3], v104 offset:36000
	ds_write_b128 v104, v[8:11] offset:21600
	s_waitcnt vmcnt(0) lgkmcnt(1)
	v_mul_f64 v[8:9], v[2:3], v[6:7]
	v_fma_f64 v[8:9], v[0:1], v[4:5], -v[8:9]
	v_mul_f64 v[0:1], v[0:1], v[6:7]
	v_fma_f64 v[10:11], v[2:3], v[4:5], v[0:1]
	global_load_dwordx4 v[4:7], v[12:13], off offset:2688
	ds_read_b128 v[0:3], v104 offset:8640
	;; [unrolled: 8-line block ×4, first 2 shown]
	v_add_co_u32_e32 v14, vcc, s10, v166
	v_addc_co_u32_e32 v15, vcc, 0, v219, vcc
	s_mov_b32 s10, 0x14000
	ds_write_b128 v104, v[8:11] offset:23040
	s_waitcnt vmcnt(0) lgkmcnt(1)
	v_mul_f64 v[8:9], v[2:3], v[6:7]
	v_fma_f64 v[8:9], v[0:1], v[4:5], -v[8:9]
	v_mul_f64 v[0:1], v[0:1], v[6:7]
	v_fma_f64 v[10:11], v[2:3], v[4:5], v[0:1]
	global_load_dwordx4 v[4:7], v[14:15], off offset:32
	ds_read_b128 v[0:3], v104 offset:10080
	ds_write_b128 v104, v[8:11] offset:37440
	s_waitcnt vmcnt(0) lgkmcnt(1)
	v_mul_f64 v[8:9], v[2:3], v[6:7]
	v_fma_f64 v[8:9], v[0:1], v[4:5], -v[8:9]
	v_mul_f64 v[0:1], v[0:1], v[6:7]
	v_fma_f64 v[10:11], v[2:3], v[4:5], v[0:1]
	global_load_dwordx4 v[4:7], v[18:19], off offset:2144
	ds_read_b128 v[0:3], v104 offset:24480
	ds_write_b128 v104, v[8:11] offset:10080
	s_waitcnt vmcnt(0) lgkmcnt(1)
	v_mul_f64 v[8:9], v[2:3], v[6:7]
	v_fma_f64 v[8:9], v[0:1], v[4:5], -v[8:9]
	v_mul_f64 v[0:1], v[0:1], v[6:7]
	v_fma_f64 v[10:11], v[2:3], v[4:5], v[0:1]
	v_add_co_u32_e32 v4, vcc, s10, v166
	v_addc_co_u32_e32 v5, vcc, 0, v219, vcc
	ds_read_b128 v[0:3], v104 offset:38880
	ds_write_b128 v104, v[8:11] offset:24480
	global_load_dwordx4 v[6:9], v[4:5], off offset:160
	s_waitcnt vmcnt(0) lgkmcnt(1)
	v_mul_f64 v[10:11], v[2:3], v[8:9]
	v_fma_f64 v[10:11], v[0:1], v[6:7], -v[10:11]
	v_mul_f64 v[0:1], v[0:1], v[8:9]
	v_fma_f64 v[12:13], v[2:3], v[6:7], v[0:1]
	global_load_dwordx4 v[6:9], v[14:15], off offset:1472
	ds_read_b128 v[0:3], v104 offset:11520
	ds_write_b128 v104, v[10:13] offset:38880
	s_waitcnt vmcnt(0) lgkmcnt(1)
	v_mul_f64 v[10:11], v[2:3], v[8:9]
	v_fma_f64 v[10:11], v[0:1], v[6:7], -v[10:11]
	v_mul_f64 v[0:1], v[0:1], v[8:9]
	v_fma_f64 v[12:13], v[2:3], v[6:7], v[0:1]
	global_load_dwordx4 v[6:9], v[18:19], off offset:3584
	ds_read_b128 v[0:3], v104 offset:25920
	ds_write_b128 v104, v[10:13] offset:11520
	;; [unrolled: 8-line block ×6, first 2 shown]
	s_waitcnt vmcnt(0) lgkmcnt(1)
	v_mul_f64 v[8:9], v[2:3], v[6:7]
	v_fma_f64 v[8:9], v[0:1], v[4:5], -v[8:9]
	v_mul_f64 v[0:1], v[0:1], v[6:7]
	v_fma_f64 v[10:11], v[2:3], v[4:5], v[0:1]
	ds_write_b128 v104, v[8:11] offset:41760
	s_waitcnt lgkmcnt(0)
	s_barrier
	ds_read_b128 v[64:67], v104
	ds_read_b128 v[68:71], v104 offset:14400
	ds_read_b128 v[84:87], v104 offset:28800
	;; [unrolled: 1-line block ×29, first 2 shown]
	s_waitcnt lgkmcnt(14)
	v_add_f64 v[110:111], v[64:65], v[68:69]
	s_waitcnt lgkmcnt(0)
	s_barrier
	v_add_f64 v[116:117], v[110:111], v[84:85]
	v_add_f64 v[110:111], v[68:69], v[84:85]
	v_fma_f64 v[64:65], v[110:111], -0.5, v[64:65]
	v_add_f64 v[110:111], v[70:71], -v[86:87]
	v_fma_f64 v[120:121], v[110:111], s[2:3], v[64:65]
	v_fma_f64 v[128:129], v[110:111], s[4:5], v[64:65]
	v_add_f64 v[64:65], v[66:67], v[70:71]
	v_add_f64 v[118:119], v[64:65], v[86:87]
	;; [unrolled: 1-line block ×3, first 2 shown]
	v_add_f64 v[70:71], v[165:166], -v[2:3]
	v_fma_f64 v[64:65], v[64:65], -0.5, v[66:67]
	v_add_f64 v[66:67], v[68:69], -v[84:85]
	v_fma_f64 v[122:123], v[66:67], s[4:5], v[64:65]
	v_fma_f64 v[130:131], v[66:67], s[2:3], v[64:65]
	v_add_f64 v[64:65], v[88:89], v[106:107]
	v_add_f64 v[66:67], v[108:109], -v[126:127]
	v_add_f64 v[84:85], v[64:65], v[124:125]
	v_add_f64 v[64:65], v[106:107], v[124:125]
	v_fma_f64 v[64:65], v[64:65], -0.5, v[88:89]
	v_fma_f64 v[88:89], v[66:67], s[2:3], v[64:65]
	v_fma_f64 v[112:113], v[66:67], s[4:5], v[64:65]
	v_add_f64 v[64:65], v[90:91], v[108:109]
	v_add_f64 v[66:67], v[106:107], -v[124:125]
	v_add_f64 v[106:107], v[98:99], -v[102:103]
	v_add_f64 v[86:87], v[64:65], v[126:127]
	v_add_f64 v[64:65], v[108:109], v[126:127]
	v_fma_f64 v[64:65], v[64:65], -0.5, v[90:91]
	v_fma_f64 v[90:91], v[66:67], s[4:5], v[64:65]
	v_fma_f64 v[114:115], v[66:67], s[2:3], v[64:65]
	v_add_f64 v[66:67], v[163:164], v[0:1]
	v_add_f64 v[64:65], v[152:153], v[163:164]
	v_fma_f64 v[66:67], v[66:67], -0.5, v[152:153]
	v_add_f64 v[64:65], v[64:65], v[0:1]
	v_add_f64 v[0:1], v[163:164], -v[0:1]
	v_fma_f64 v[68:69], v[70:71], s[2:3], v[66:67]
	v_fma_f64 v[108:109], v[70:71], s[4:5], v[66:67]
	v_add_f64 v[66:67], v[154:155], v[165:166]
	v_add_f64 v[66:67], v[66:67], v[2:3]
	v_add_f64 v[2:3], v[165:166], v[2:3]
	v_fma_f64 v[2:3], v[2:3], -0.5, v[154:155]
	v_fma_f64 v[70:71], v[0:1], s[4:5], v[2:3]
	v_fma_f64 v[110:111], v[0:1], s[2:3], v[2:3]
	v_add_f64 v[2:3], v[96:97], v[100:101]
	v_add_f64 v[0:1], v[4:5], v[96:97]
	v_add_f64 v[96:97], v[96:97], -v[100:101]
	v_fma_f64 v[2:3], v[2:3], -0.5, v[4:5]
	v_add_f64 v[0:1], v[0:1], v[100:101]
	v_add_f64 v[100:101], v[74:75], -v[78:79]
	v_fma_f64 v[4:5], v[106:107], s[2:3], v[2:3]
	v_fma_f64 v[124:125], v[106:107], s[4:5], v[2:3]
	v_add_f64 v[2:3], v[6:7], v[98:99]
	v_add_f64 v[98:99], v[98:99], v[102:103]
	v_add_f64 v[2:3], v[2:3], v[102:103]
	v_fma_f64 v[98:99], v[98:99], -0.5, v[6:7]
	v_fma_f64 v[6:7], v[96:97], s[4:5], v[98:99]
	v_fma_f64 v[126:127], v[96:97], s[2:3], v[98:99]
	v_add_f64 v[98:99], v[72:73], v[76:77]
	v_add_f64 v[96:97], v[80:81], v[72:73]
	v_add_f64 v[72:73], v[72:73], -v[76:77]
	;; [unrolled: 14-line block ×5, first 2 shown]
	v_fma_f64 v[38:39], v[38:39], -0.5, v[32:33]
	v_add_f64 v[36:37], v[36:37], v[28:29]
	v_fma_f64 v[32:33], v[40:41], s[2:3], v[38:39]
	v_fma_f64 v[40:41], v[40:41], s[4:5], v[38:39]
	v_add_f64 v[38:39], v[34:35], v[26:27]
	v_add_f64 v[26:27], v[26:27], v[30:31]
	;; [unrolled: 1-line block ×3, first 2 shown]
	v_fma_f64 v[26:27], v[26:27], -0.5, v[34:35]
	v_add_f64 v[30:31], v[14:15], -v[18:19]
	v_fma_f64 v[34:35], v[24:25], s[4:5], v[26:27]
	v_fma_f64 v[42:43], v[24:25], s[2:3], v[26:27]
	v_add_f64 v[26:27], v[12:13], v[16:17]
	v_add_f64 v[24:25], v[60:61], v[12:13]
	v_add_f64 v[12:13], v[12:13], -v[16:17]
	v_fma_f64 v[26:27], v[26:27], -0.5, v[60:61]
	v_add_f64 v[24:25], v[24:25], v[16:17]
	v_fma_f64 v[28:29], v[30:31], s[2:3], v[26:27]
	v_fma_f64 v[60:61], v[30:31], s[4:5], v[26:27]
	v_add_f64 v[26:27], v[62:63], v[14:15]
	v_add_f64 v[14:15], v[14:15], v[18:19]
	;; [unrolled: 1-line block ×3, first 2 shown]
	v_fma_f64 v[14:15], v[14:15], -0.5, v[62:63]
	v_add_f64 v[18:19], v[22:23], -v[10:11]
	v_fma_f64 v[30:31], v[12:13], s[4:5], v[14:15]
	v_fma_f64 v[62:63], v[12:13], s[2:3], v[14:15]
	v_add_f64 v[14:15], v[20:21], v[8:9]
	v_add_f64 v[12:13], v[92:93], v[20:21]
	v_fma_f64 v[14:15], v[14:15], -0.5, v[92:93]
	v_add_f64 v[12:13], v[12:13], v[8:9]
	v_add_f64 v[8:9], v[20:21], -v[8:9]
	v_fma_f64 v[16:17], v[18:19], s[2:3], v[14:15]
	v_fma_f64 v[92:93], v[18:19], s[4:5], v[14:15]
	v_add_f64 v[14:15], v[94:95], v[22:23]
	v_add_f64 v[14:15], v[14:15], v[10:11]
	;; [unrolled: 1-line block ×3, first 2 shown]
	v_fma_f64 v[10:11], v[10:11], -0.5, v[94:95]
	v_fma_f64 v[18:19], v[8:9], s[4:5], v[10:11]
	v_fma_f64 v[94:95], v[8:9], s[2:3], v[10:11]
	buffer_load_dword v8, off, s[36:39], 0 offset:592 ; 4-byte Folded Reload
	s_waitcnt vmcnt(0)
	ds_write_b128 v8, v[116:119]
	ds_write_b128 v8, v[120:123] offset:16
	ds_write_b128 v8, v[128:131] offset:32
	buffer_load_dword v8, off, s[36:39], 0 offset:588 ; 4-byte Folded Reload
	s_waitcnt vmcnt(0)
	ds_write_b128 v8, v[84:87]
	ds_write_b128 v8, v[88:91] offset:16
	ds_write_b128 v8, v[112:115] offset:32
	;; [unrolled: 5-line block ×10, first 2 shown]
	s_waitcnt lgkmcnt(0)
	s_barrier
	ds_read_b128 v[20:23], v104
	ds_read_b128 v[8:11], v104 offset:4320
	ds_read_b128 v[12:15], v104 offset:8640
	;; [unrolled: 1-line block ×29, first 2 shown]
	buffer_load_dword v0, off, s[36:39], 0 offset:556 ; 4-byte Folded Reload
	buffer_load_dword v1, off, s[36:39], 0 offset:560 ; 4-byte Folded Reload
	buffer_load_dword v2, off, s[36:39], 0 offset:564 ; 4-byte Folded Reload
	buffer_load_dword v3, off, s[36:39], 0 offset:568 ; 4-byte Folded Reload
	s_waitcnt vmcnt(0) lgkmcnt(14)
	v_mul_f64 v[92:93], v[2:3], v[10:11]
	v_fma_f64 v[130:131], v[0:1], v[8:9], v[92:93]
	v_mul_f64 v[8:9], v[2:3], v[8:9]
	v_fma_f64 v[160:161], v[0:1], v[10:11], -v[8:9]
	buffer_load_dword v0, off, s[36:39], 0 offset:540 ; 4-byte Folded Reload
	buffer_load_dword v1, off, s[36:39], 0 offset:544 ; 4-byte Folded Reload
	buffer_load_dword v2, off, s[36:39], 0 offset:548 ; 4-byte Folded Reload
	buffer_load_dword v3, off, s[36:39], 0 offset:552 ; 4-byte Folded Reload
	s_waitcnt vmcnt(0)
	v_mul_f64 v[8:9], v[2:3], v[14:15]
	v_fma_f64 v[169:170], v[0:1], v[12:13], v[8:9]
	v_mul_f64 v[8:9], v[2:3], v[12:13]
	v_fma_f64 v[102:103], v[0:1], v[14:15], -v[8:9]
	buffer_load_dword v0, off, s[36:39], 0 offset:524 ; 4-byte Folded Reload
	buffer_load_dword v1, off, s[36:39], 0 offset:528 ; 4-byte Folded Reload
	buffer_load_dword v2, off, s[36:39], 0 offset:532 ; 4-byte Folded Reload
	buffer_load_dword v3, off, s[36:39], 0 offset:536 ; 4-byte Folded Reload
	s_waitcnt vmcnt(0)
	;; [unrolled: 9-line block ×3, first 2 shown]
	v_mul_f64 v[8:9], v[2:3], v[26:27]
	v_mul_f64 v[2:3], v[2:3], v[24:25]
	v_fma_f64 v[4:5], v[0:1], v[24:25], v[8:9]
	v_fma_f64 v[12:13], v[0:1], v[26:27], -v[2:3]
	buffer_load_dword v0, off, s[36:39], 0 offset:644 ; 4-byte Folded Reload
	buffer_load_dword v1, off, s[36:39], 0 offset:648 ; 4-byte Folded Reload
	;; [unrolled: 1-line block ×8, first 2 shown]
	s_waitcnt vmcnt(4)
	v_mul_f64 v[10:11], v[2:3], v[28:29]
	s_waitcnt vmcnt(0)
	v_mul_f64 v[6:7], v[26:27], v[32:33]
	v_mul_f64 v[8:9], v[2:3], v[30:31]
	v_fma_f64 v[92:93], v[0:1], v[30:31], -v[10:11]
	v_mul_f64 v[10:11], v[26:27], v[34:35]
	v_fma_f64 v[6:7], v[24:25], v[34:35], -v[6:7]
	v_fma_f64 v[16:17], v[0:1], v[28:29], v[8:9]
	v_fma_f64 v[2:3], v[24:25], v[32:33], v[10:11]
	buffer_load_dword v24, off, s[36:39], 0 offset:612 ; 4-byte Folded Reload
	buffer_load_dword v25, off, s[36:39], 0 offset:616 ; 4-byte Folded Reload
	buffer_load_dword v26, off, s[36:39], 0 offset:620 ; 4-byte Folded Reload
	buffer_load_dword v27, off, s[36:39], 0 offset:624 ; 4-byte Folded Reload
	s_waitcnt vmcnt(0)
	v_mul_f64 v[10:11], v[26:27], v[38:39]
	v_fma_f64 v[14:15], v[24:25], v[36:37], v[10:11]
	v_mul_f64 v[10:11], v[26:27], v[36:37]
	v_fma_f64 v[120:121], v[24:25], v[38:39], -v[10:11]
	buffer_load_dword v24, off, s[36:39], 0 offset:596 ; 4-byte Folded Reload
	buffer_load_dword v25, off, s[36:39], 0 offset:600 ; 4-byte Folded Reload
	buffer_load_dword v26, off, s[36:39], 0 offset:604 ; 4-byte Folded Reload
	buffer_load_dword v27, off, s[36:39], 0 offset:608 ; 4-byte Folded Reload
	s_waitcnt vmcnt(0)
	v_mul_f64 v[10:11], v[26:27], v[42:43]
	v_fma_f64 v[0:1], v[24:25], v[40:41], v[10:11]
	v_mul_f64 v[10:11], v[26:27], v[40:41]
	v_fma_f64 v[112:113], v[24:25], v[42:43], -v[10:11]
	;; [unrolled: 9-line block ×6, first 2 shown]
	buffer_load_dword v24, off, s[36:39], 0 offset:708 ; 4-byte Folded Reload
	buffer_load_dword v25, off, s[36:39], 0 offset:712 ; 4-byte Folded Reload
	;; [unrolled: 1-line block ×4, first 2 shown]
	s_waitcnt vmcnt(0)
	v_mul_f64 v[18:19], v[26:27], v[62:63]
	v_fma_f64 v[38:39], v[24:25], v[60:61], v[18:19]
	v_mul_f64 v[18:19], v[26:27], v[60:61]
	buffer_load_dword v26, off, s[36:39], 0 offset:740 ; 4-byte Folded Reload
	buffer_load_dword v27, off, s[36:39], 0 offset:744 ; 4-byte Folded Reload
	;; [unrolled: 1-line block ×4, first 2 shown]
	v_fma_f64 v[34:35], v[24:25], v[62:63], -v[18:19]
	s_waitcnt vmcnt(0)
	v_mul_f64 v[18:19], v[28:29], v[66:67]
	v_mul_f64 v[24:25], v[28:29], v[64:65]
	v_fma_f64 v[18:19], v[26:27], v[64:65], v[18:19]
	v_fma_f64 v[64:65], v[26:27], v[66:67], -v[24:25]
	buffer_load_dword v26, off, s[36:39], 0 offset:756 ; 4-byte Folded Reload
	buffer_load_dword v27, off, s[36:39], 0 offset:760 ; 4-byte Folded Reload
	;; [unrolled: 1-line block ×4, first 2 shown]
	s_waitcnt vmcnt(0) lgkmcnt(13)
	v_mul_f64 v[24:25], v[28:29], v[70:71]
	v_fma_f64 v[42:43], v[26:27], v[68:69], v[24:25]
	v_mul_f64 v[24:25], v[28:29], v[68:69]
	buffer_load_dword v28, off, s[36:39], 0 offset:788 ; 4-byte Folded Reload
	buffer_load_dword v29, off, s[36:39], 0 offset:792 ; 4-byte Folded Reload
	;; [unrolled: 1-line block ×8, first 2 shown]
	v_add_f64 v[68:69], v[12:13], -v[6:7]
	v_fma_f64 v[40:41], v[26:27], v[70:71], -v[24:25]
	v_add_f64 v[70:71], v[169:170], -v[4:5]
	s_waitcnt vmcnt(4) lgkmcnt(12)
	v_mul_f64 v[24:25], v[30:31], v[74:75]
	v_fma_f64 v[26:27], v[28:29], v[72:73], v[24:25]
	v_mul_f64 v[24:25], v[30:31], v[72:73]
	v_add_f64 v[72:73], v[0:1], -v[2:3]
	v_fma_f64 v[24:25], v[28:29], v[74:75], -v[24:25]
	s_waitcnt vmcnt(0) lgkmcnt(11)
	v_mul_f64 v[28:29], v[56:57], v[78:79]
	v_add_f64 v[70:71], v[70:71], v[72:73]
	v_add_f64 v[72:73], v[4:5], -v[169:170]
	v_add_f64 v[74:75], v[2:3], -v[0:1]
	v_fma_f64 v[46:47], v[54:55], v[76:77], v[28:29]
	v_mul_f64 v[28:29], v[56:57], v[76:77]
	v_add_f64 v[72:73], v[72:73], v[74:75]
	v_add_f64 v[74:75], v[16:17], -v[110:111]
	v_fma_f64 v[76:77], v[54:55], v[78:79], -v[28:29]
	buffer_load_dword v54, off, s[36:39], 0 offset:804 ; 4-byte Folded Reload
	buffer_load_dword v55, off, s[36:39], 0 offset:808 ; 4-byte Folded Reload
	;; [unrolled: 1-line block ×4, first 2 shown]
	s_waitcnt vmcnt(0) lgkmcnt(10)
	v_mul_f64 v[28:29], v[56:57], v[82:83]
	v_fma_f64 v[30:31], v[54:55], v[80:81], v[28:29]
	v_mul_f64 v[28:29], v[56:57], v[80:81]
	buffer_load_dword v56, off, s[36:39], 0 offset:820 ; 4-byte Folded Reload
	buffer_load_dword v57, off, s[36:39], 0 offset:824 ; 4-byte Folded Reload
	;; [unrolled: 1-line block ×4, first 2 shown]
	v_fma_f64 v[28:29], v[54:55], v[82:83], -v[28:29]
	s_waitcnt vmcnt(0) lgkmcnt(8)
	v_mul_f64 v[54:55], v[58:59], v[86:87]
	v_fma_f64 v[78:79], v[56:57], v[84:85], v[54:55]
	v_mul_f64 v[54:55], v[58:59], v[84:85]
	v_fma_f64 v[84:85], v[56:57], v[86:87], -v[54:55]
	buffer_load_dword v56, off, s[36:39], 0 offset:836 ; 4-byte Folded Reload
	buffer_load_dword v57, off, s[36:39], 0 offset:840 ; 4-byte Folded Reload
	buffer_load_dword v58, off, s[36:39], 0 offset:844 ; 4-byte Folded Reload
	buffer_load_dword v59, off, s[36:39], 0 offset:848 ; 4-byte Folded Reload
	s_waitcnt vmcnt(0) lgkmcnt(7)
	v_mul_f64 v[54:55], v[58:59], v[90:91]
	v_fma_f64 v[82:83], v[56:57], v[88:89], v[54:55]
	v_mul_f64 v[54:55], v[58:59], v[88:89]
	v_fma_f64 v[66:67], v[56:57], v[90:91], -v[54:55]
	buffer_load_dword v56, off, s[36:39], 0 offset:852 ; 4-byte Folded Reload
	buffer_load_dword v57, off, s[36:39], 0 offset:856 ; 4-byte Folded Reload
	;; [unrolled: 1-line block ×4, first 2 shown]
	s_waitcnt vmcnt(0) lgkmcnt(6)
	v_mul_f64 v[54:55], v[58:59], v[96:97]
	v_fma_f64 v[90:91], v[56:57], v[94:95], v[54:55]
	v_mul_f64 v[54:55], v[58:59], v[94:95]
	buffer_load_dword v58, off, s[36:39], 0 offset:868 ; 4-byte Folded Reload
	buffer_load_dword v59, off, s[36:39], 0 offset:872 ; 4-byte Folded Reload
	;; [unrolled: 1-line block ×4, first 2 shown]
	v_fma_f64 v[86:87], v[56:57], v[96:97], -v[54:55]
	s_waitcnt vmcnt(0) lgkmcnt(5)
	v_mul_f64 v[54:55], v[60:61], v[100:101]
	v_mul_f64 v[56:57], v[60:61], v[98:99]
	v_fma_f64 v[54:55], v[58:59], v[98:99], v[54:55]
	v_fma_f64 v[80:81], v[58:59], v[100:101], -v[56:57]
	buffer_load_dword v58, off, s[36:39], 0 offset:948 ; 4-byte Folded Reload
	buffer_load_dword v59, off, s[36:39], 0 offset:952 ; 4-byte Folded Reload
	;; [unrolled: 1-line block ×4, first 2 shown]
	s_waitcnt lgkmcnt(4)
	v_mul_f64 v[56:57], v[242:243], v[116:117]
	v_fma_f64 v[96:97], v[240:241], v[114:115], v[56:57]
	v_mul_f64 v[56:57], v[242:243], v[114:115]
	v_fma_f64 v[88:89], v[240:241], v[116:117], -v[56:57]
	s_waitcnt vmcnt(0) lgkmcnt(3)
	v_mul_f64 v[56:57], v[60:61], v[124:125]
	v_fma_f64 v[116:117], v[58:59], v[122:123], v[56:57]
	v_mul_f64 v[56:57], v[60:61], v[122:123]
	v_fma_f64 v[124:125], v[58:59], v[124:125], -v[56:57]
	buffer_load_dword v58, off, s[36:39], 0 offset:964 ; 4-byte Folded Reload
	buffer_load_dword v59, off, s[36:39], 0 offset:968 ; 4-byte Folded Reload
	;; [unrolled: 1-line block ×4, first 2 shown]
	s_waitcnt vmcnt(0) lgkmcnt(2)
	v_mul_f64 v[56:57], v[60:61], v[128:129]
	v_fma_f64 v[100:101], v[58:59], v[126:127], v[56:57]
	v_mul_f64 v[56:57], v[60:61], v[126:127]
	v_fma_f64 v[94:95], v[58:59], v[128:129], -v[56:57]
	buffer_load_dword v58, off, s[36:39], 0 offset:980 ; 4-byte Folded Reload
	buffer_load_dword v59, off, s[36:39], 0 offset:984 ; 4-byte Folded Reload
	;; [unrolled: 1-line block ×4, first 2 shown]
	s_waitcnt vmcnt(0) lgkmcnt(0)
	s_barrier
	v_mul_f64 v[56:57], v[60:61], v[154:155]
	v_fma_f64 v[126:127], v[58:59], v[152:153], v[56:57]
	v_mul_f64 v[56:57], v[60:61], v[152:153]
	v_add_f64 v[60:61], v[102:103], -v[112:113]
	v_fma_f64 v[114:115], v[58:59], v[154:155], -v[56:57]
	v_add_f64 v[58:59], v[4:5], v[2:3]
	v_mul_f64 v[56:57], v[254:255], v[165:166]
	v_fma_f64 v[58:59], v[58:59], -0.5, v[20:21]
	v_fma_f64 v[122:123], v[252:253], v[163:164], v[56:57]
	v_mul_f64 v[56:57], v[254:255], v[163:164]
	v_fma_f64 v[62:63], v[60:61], s[16:17], v[58:59]
	v_fma_f64 v[58:59], v[60:61], s[6:7], v[58:59]
	v_fma_f64 v[98:99], v[252:253], v[165:166], -v[56:57]
	v_add_f64 v[56:57], v[20:21], v[169:170]
	v_fma_f64 v[62:63], v[68:69], s[18:19], v[62:63]
	v_fma_f64 v[58:59], v[68:69], s[8:9], v[58:59]
	v_add_f64 v[56:57], v[56:57], v[4:5]
	v_fma_f64 v[62:63], v[70:71], s[14:15], v[62:63]
	v_fma_f64 v[58:59], v[70:71], s[14:15], v[58:59]
	v_add_f64 v[70:71], v[169:170], v[0:1]
	v_add_f64 v[56:57], v[56:57], v[2:3]
	v_add_f64 v[2:3], v[4:5], -v[2:3]
	v_fma_f64 v[20:21], v[70:71], -0.5, v[20:21]
	v_add_f64 v[56:57], v[56:57], v[0:1]
	v_add_f64 v[0:1], v[169:170], -v[0:1]
	v_fma_f64 v[70:71], v[68:69], s[6:7], v[20:21]
	v_fma_f64 v[20:21], v[68:69], s[16:17], v[20:21]
	;; [unrolled: 1-line block ×4, first 2 shown]
	v_add_f64 v[60:61], v[22:23], v[102:103]
	v_fma_f64 v[242:243], v[72:73], s[14:15], v[70:71]
	v_add_f64 v[70:71], v[112:113], -v[6:7]
	v_add_f64 v[60:61], v[60:61], v[12:13]
	v_fma_f64 v[20:21], v[72:73], s[14:15], v[20:21]
	v_add_f64 v[72:73], v[8:9], -v[14:15]
	v_add_f64 v[60:61], v[60:61], v[6:7]
	v_add_f64 v[254:255], v[60:61], v[112:113]
	;; [unrolled: 1-line block ×3, first 2 shown]
	v_add_f64 v[6:7], v[6:7], -v[112:113]
	v_fma_f64 v[60:61], v[60:61], -0.5, v[22:23]
	v_fma_f64 v[68:69], v[0:1], s[6:7], v[60:61]
	v_fma_f64 v[4:5], v[2:3], s[8:9], v[68:69]
	v_add_f64 v[68:69], v[102:103], -v[12:13]
	v_add_f64 v[12:13], v[12:13], -v[102:103]
	v_add_f64 v[68:69], v[68:69], v[70:71]
	v_add_f64 v[6:7], v[12:13], v[6:7]
	v_add_f64 v[70:71], v[110:111], -v[16:17]
	v_fma_f64 v[169:170], v[68:69], s[14:15], v[4:5]
	v_fma_f64 v[4:5], v[0:1], s[16:17], v[60:61]
	v_add_f64 v[60:61], v[102:103], v[112:113]
	v_add_f64 v[70:71], v[70:71], v[72:73]
	v_add_f64 v[102:103], v[14:15], -v[8:9]
	v_fma_f64 v[4:5], v[2:3], s[18:19], v[4:5]
	v_fma_f64 v[22:23], v[60:61], -0.5, v[22:23]
	v_add_f64 v[74:75], v[74:75], v[102:103]
	v_fma_f64 v[4:5], v[68:69], s[14:15], v[4:5]
	v_fma_f64 v[60:61], v[2:3], s[16:17], v[22:23]
	v_fma_f64 v[2:3], v[2:3], s[6:7], v[22:23]
	v_add_f64 v[22:23], v[118:119], -v[10:11]
	v_add_f64 v[68:69], v[92:93], -v[120:121]
	v_fma_f64 v[60:61], v[0:1], s[8:9], v[60:61]
	v_fma_f64 v[0:1], v[0:1], s[18:19], v[2:3]
	v_add_f64 v[2:3], v[16:17], v[14:15]
	v_fma_f64 v[12:13], v[6:7], s[14:15], v[60:61]
	v_fma_f64 v[6:7], v[6:7], s[14:15], v[0:1]
	v_fma_f64 v[2:3], v[2:3], -0.5, v[130:131]
	v_add_f64 v[0:1], v[130:131], v[110:111]
	v_fma_f64 v[60:61], v[22:23], s[16:17], v[2:3]
	v_fma_f64 v[2:3], v[22:23], s[6:7], v[2:3]
	v_add_f64 v[0:1], v[0:1], v[16:17]
	v_fma_f64 v[60:61], v[68:69], s[18:19], v[60:61]
	v_fma_f64 v[2:3], v[68:69], s[8:9], v[2:3]
	v_add_f64 v[0:1], v[0:1], v[14:15]
	v_add_f64 v[14:15], v[16:17], -v[14:15]
	v_fma_f64 v[60:61], v[70:71], s[14:15], v[60:61]
	v_fma_f64 v[2:3], v[70:71], s[14:15], v[2:3]
	v_add_f64 v[70:71], v[110:111], v[8:9]
	v_add_f64 v[0:1], v[0:1], v[8:9]
	v_add_f64 v[8:9], v[110:111], -v[8:9]
	v_fma_f64 v[70:71], v[70:71], -0.5, v[130:131]
	v_add_f64 v[163:164], v[56:57], v[0:1]
	v_add_f64 v[240:241], v[56:57], -v[0:1]
	v_add_f64 v[0:1], v[105:106], v[36:37]
	v_fma_f64 v[72:73], v[68:69], s[6:7], v[70:71]
	v_fma_f64 v[68:69], v[68:69], s[16:17], v[70:71]
	v_add_f64 v[0:1], v[0:1], v[38:39]
	v_fma_f64 v[72:73], v[22:23], s[18:19], v[72:73]
	v_fma_f64 v[22:23], v[22:23], s[8:9], v[68:69]
	v_add_f64 v[68:69], v[160:161], v[118:119]
	v_add_f64 v[0:1], v[0:1], v[42:43]
	v_fma_f64 v[102:103], v[74:75], s[14:15], v[72:73]
	v_add_f64 v[72:73], v[10:11], -v[120:121]
	v_add_f64 v[68:69], v[68:69], v[92:93]
	v_fma_f64 v[22:23], v[74:75], s[14:15], v[22:23]
	v_add_f64 v[0:1], v[0:1], v[46:47]
	v_add_f64 v[68:69], v[68:69], v[120:121]
	;; [unrolled: 1-line block ×5, first 2 shown]
	v_fma_f64 v[68:69], v[68:69], -0.5, v[160:161]
	v_fma_f64 v[70:71], v[8:9], s[6:7], v[68:69]
	v_fma_f64 v[68:69], v[8:9], s[16:17], v[68:69]
	v_fma_f64 v[16:17], v[14:15], s[8:9], v[70:71]
	v_add_f64 v[70:71], v[118:119], -v[92:93]
	v_fma_f64 v[68:69], v[14:15], s[18:19], v[68:69]
	v_add_f64 v[70:71], v[70:71], v[72:73]
	v_add_f64 v[72:73], v[92:93], -v[118:119]
	v_fma_f64 v[109:110], v[70:71], s[14:15], v[68:69]
	v_add_f64 v[68:69], v[118:119], v[10:11]
	v_fma_f64 v[16:17], v[70:71], s[14:15], v[16:17]
	v_add_f64 v[10:11], v[120:121], -v[10:11]
	v_fma_f64 v[68:69], v[68:69], -0.5, v[160:161]
	v_add_f64 v[10:11], v[72:73], v[10:11]
	v_fma_f64 v[70:71], v[14:15], s[16:17], v[68:69]
	v_fma_f64 v[14:15], v[14:15], s[6:7], v[68:69]
	;; [unrolled: 1-line block ×6, first 2 shown]
	v_mul_f64 v[10:11], v[16:17], s[18:19]
	v_mul_f64 v[16:17], v[16:17], s[20:21]
	;; [unrolled: 1-line block ×5, first 2 shown]
	v_fma_f64 v[10:11], v[60:61], s[20:21], v[10:11]
	v_fma_f64 v[16:17], v[60:61], s[8:9], v[16:17]
	v_mul_f64 v[60:61], v[74:75], s[14:15]
	v_fma_f64 v[14:15], v[102:103], s[14:15], v[14:15]
	v_fma_f64 v[92:93], v[22:23], s[22:23], v[70:71]
	v_mul_f64 v[70:71], v[109:110], s[18:19]
	v_fma_f64 v[8:9], v[22:23], s[6:7], v[8:9]
	v_mul_f64 v[22:23], v[109:110], s[24:25]
	v_add_f64 v[68:69], v[62:63], v[10:11]
	v_add_f64 v[252:253], v[62:63], -v[10:11]
	v_fma_f64 v[102:103], v[102:103], s[6:7], v[60:61]
	v_add_f64 v[10:11], v[36:37], -v[38:39]
	v_add_f64 v[72:73], v[242:243], v[14:15]
	v_fma_f64 v[120:121], v[2:3], s[24:25], v[70:71]
	v_add_f64 v[154:155], v[6:7], v[8:9]
	v_fma_f64 v[2:3], v[2:3], s[8:9], v[22:23]
	v_add_f64 v[70:71], v[169:170], v[16:17]
	v_add_f64 v[118:119], v[242:243], -v[14:15]
	v_add_f64 v[74:75], v[12:13], v[102:103]
	v_add_f64 v[242:243], v[254:255], -v[112:113]
	v_add_f64 v[254:255], v[169:170], -v[16:17]
	v_add_f64 v[128:129], v[58:59], v[120:121]
	v_add_f64 v[60:61], v[58:59], -v[120:121]
	v_add_f64 v[130:131], v[4:5], v[2:3]
	;; [unrolled: 2-line block ×3, first 2 shown]
	v_add_f64 v[4:5], v[32:33], -v[76:77]
	v_add_f64 v[120:121], v[12:13], -v[102:103]
	;; [unrolled: 1-line block ×7, first 2 shown]
	v_fma_f64 v[2:3], v[2:3], -0.5, v[105:106]
	v_add_f64 v[152:153], v[20:21], v[92:93]
	v_add_f64 v[56:57], v[20:21], -v[92:93]
	v_add_f64 v[109:110], v[100:101], -v[122:123]
	v_add_f64 v[10:11], v[10:11], v[12:13]
	v_add_f64 v[14:15], v[14:15], v[16:17]
	v_fma_f64 v[6:7], v[4:5], s[16:17], v[2:3]
	v_fma_f64 v[2:3], v[4:5], s[6:7], v[2:3]
	v_add_f64 v[16:17], v[32:33], -v[34:35]
	v_fma_f64 v[6:7], v[8:9], s[18:19], v[6:7]
	v_fma_f64 v[2:3], v[8:9], s[8:9], v[2:3]
	;; [unrolled: 1-line block ×3, first 2 shown]
	v_add_f64 v[6:7], v[36:37], v[46:47]
	v_fma_f64 v[2:3], v[10:11], s[14:15], v[2:3]
	v_fma_f64 v[6:7], v[6:7], -0.5, v[105:106]
	v_fma_f64 v[10:11], v[8:9], s[6:7], v[6:7]
	v_fma_f64 v[6:7], v[8:9], s[16:17], v[6:7]
	;; [unrolled: 1-line block ×4, first 2 shown]
	v_add_f64 v[6:7], v[36:37], -v[46:47]
	v_add_f64 v[36:37], v[76:77], -v[40:41]
	v_fma_f64 v[20:21], v[14:15], s[14:15], v[10:11]
	v_fma_f64 v[14:15], v[14:15], s[14:15], v[4:5]
	v_add_f64 v[4:5], v[107:108], v[32:33]
	v_add_f64 v[10:11], v[38:39], -v[42:43]
	v_add_f64 v[16:17], v[16:17], v[36:37]
	v_add_f64 v[4:5], v[4:5], v[34:35]
	v_add_f64 v[4:5], v[4:5], v[40:41]
	v_add_f64 v[22:23], v[4:5], v[76:77]
	v_add_f64 v[4:5], v[34:35], v[40:41]
	v_fma_f64 v[4:5], v[4:5], -0.5, v[107:108]
	v_fma_f64 v[8:9], v[6:7], s[6:7], v[4:5]
	v_fma_f64 v[4:5], v[6:7], s[16:17], v[4:5]
	;; [unrolled: 1-line block ×6, first 2 shown]
	v_add_f64 v[4:5], v[32:33], v[76:77]
	v_add_f64 v[16:17], v[34:35], -v[32:33]
	v_add_f64 v[32:33], v[40:41], -v[76:77]
	v_fma_f64 v[4:5], v[4:5], -0.5, v[107:108]
	v_add_f64 v[16:17], v[16:17], v[32:33]
	v_add_f64 v[32:33], v[30:31], -v[26:27]
	v_fma_f64 v[8:9], v[10:11], s[16:17], v[4:5]
	v_fma_f64 v[4:5], v[10:11], s[6:7], v[4:5]
	v_add_f64 v[10:11], v[64:65], -v[24:25]
	v_fma_f64 v[8:9], v[6:7], s[8:9], v[8:9]
	v_fma_f64 v[4:5], v[6:7], s[18:19], v[4:5]
	;; [unrolled: 3-line block ×3, first 2 shown]
	v_add_f64 v[4:5], v[44:45], v[52:53]
	v_add_f64 v[16:17], v[52:53], -v[18:19]
	v_add_f64 v[4:5], v[4:5], v[18:19]
	v_add_f64 v[16:17], v[16:17], v[32:33]
	v_add_f64 v[32:33], v[26:27], -v[30:31]
	v_add_f64 v[4:5], v[4:5], v[26:27]
	v_add_f64 v[36:37], v[4:5], v[30:31]
	;; [unrolled: 1-line block ×3, first 2 shown]
	v_fma_f64 v[4:5], v[4:5], -0.5, v[44:45]
	v_fma_f64 v[8:9], v[6:7], s[16:17], v[4:5]
	v_fma_f64 v[4:5], v[6:7], s[6:7], v[4:5]
	;; [unrolled: 1-line block ×6, first 2 shown]
	v_add_f64 v[4:5], v[52:53], v[30:31]
	v_add_f64 v[16:17], v[18:19], -v[52:53]
	v_fma_f64 v[4:5], v[4:5], -0.5, v[44:45]
	v_add_f64 v[16:17], v[16:17], v[32:33]
	v_fma_f64 v[8:9], v[10:11], s[6:7], v[4:5]
	v_fma_f64 v[4:5], v[10:11], s[16:17], v[4:5]
	v_add_f64 v[10:11], v[18:19], -v[26:27]
	v_add_f64 v[18:19], v[28:29], -v[24:25]
	v_fma_f64 v[8:9], v[6:7], s[18:19], v[8:9]
	v_fma_f64 v[4:5], v[6:7], s[8:9], v[4:5]
	v_add_f64 v[6:7], v[52:53], -v[30:31]
	v_fma_f64 v[44:45], v[16:17], s[14:15], v[8:9]
	v_fma_f64 v[92:93], v[16:17], s[14:15], v[4:5]
	v_add_f64 v[4:5], v[48:49], v[50:51]
	v_add_f64 v[16:17], v[50:51], -v[64:65]
	v_add_f64 v[4:5], v[4:5], v[64:65]
	v_add_f64 v[16:17], v[16:17], v[18:19]
	;; [unrolled: 1-line block ×5, first 2 shown]
	v_add_f64 v[24:25], v[24:25], -v[28:29]
	v_fma_f64 v[4:5], v[4:5], -0.5, v[48:49]
	v_fma_f64 v[8:9], v[6:7], s[6:7], v[4:5]
	v_fma_f64 v[4:5], v[6:7], s[16:17], v[4:5]
	;; [unrolled: 1-line block ×6, first 2 shown]
	v_add_f64 v[4:5], v[50:51], v[28:29]
	v_add_f64 v[16:17], v[64:65], -v[50:51]
	v_fma_f64 v[4:5], v[4:5], -0.5, v[48:49]
	v_add_f64 v[16:17], v[16:17], v[24:25]
	v_fma_f64 v[8:9], v[10:11], s[16:17], v[4:5]
	v_fma_f64 v[4:5], v[10:11], s[6:7], v[4:5]
	v_mul_f64 v[10:11], v[18:19], s[20:21]
	v_fma_f64 v[8:9], v[6:7], s[8:9], v[8:9]
	v_fma_f64 v[4:5], v[6:7], s[18:19], v[4:5]
	v_mul_f64 v[6:7], v[18:19], s[18:19]
	v_fma_f64 v[105:106], v[34:35], s[8:9], v[10:11]
	v_fma_f64 v[26:27], v[16:17], s[14:15], v[8:9]
	;; [unrolled: 1-line block ×4, first 2 shown]
	v_add_f64 v[4:5], v[0:1], v[36:37]
	v_add_f64 v[0:1], v[0:1], -v[36:37]
	v_add_f64 v[10:11], v[38:39], v[105:106]
	v_mul_f64 v[6:7], v[26:27], s[16:17]
	v_mul_f64 v[18:19], v[26:27], s[14:15]
	;; [unrolled: 1-line block ×3, first 2 shown]
	v_add_f64 v[8:9], v[12:13], v[48:49]
	v_add_f64 v[12:13], v[12:13], -v[48:49]
	v_add_f64 v[48:49], v[80:81], -v[124:125]
	v_fma_f64 v[50:51], v[44:45], s[14:15], v[6:7]
	v_mul_f64 v[6:7], v[28:29], s[16:17]
	v_mul_f64 v[28:29], v[30:31], s[24:25]
	v_fma_f64 v[44:45], v[44:45], s[6:7], v[18:19]
	v_add_f64 v[16:17], v[20:21], v[50:51]
	v_fma_f64 v[52:53], v[92:93], s[22:23], v[6:7]
	v_mul_f64 v[6:7], v[30:31], s[18:19]
	v_fma_f64 v[107:108], v[40:41], s[8:9], v[28:29]
	v_add_f64 v[18:19], v[46:47], v[44:45]
	v_add_f64 v[30:31], v[46:47], -v[44:45]
	v_add_f64 v[44:45], v[66:67], -v[114:115]
	;; [unrolled: 1-line block ×4, first 2 shown]
	v_add_f64 v[24:25], v[14:15], v[52:53]
	v_fma_f64 v[64:65], v[40:41], s[24:25], v[6:7]
	v_add_f64 v[6:7], v[22:23], v[102:103]
	v_add_f64 v[36:37], v[14:15], -v[52:53]
	v_add_f64 v[52:53], v[126:127], -v[116:117]
	v_fma_f64 v[92:93], v[92:93], s[6:7], v[26:27]
	v_add_f64 v[14:15], v[38:39], -v[105:106]
	v_add_f64 v[20:21], v[132:133], v[82:83]
	v_add_f64 v[34:35], v[42:43], v[107:108]
	;; [unrolled: 1-line block ×3, first 2 shown]
	v_add_f64 v[40:41], v[2:3], -v[64:65]
	v_add_f64 v[2:3], v[22:23], -v[102:103]
	v_add_f64 v[22:23], v[54:55], v[116:117]
	v_add_f64 v[50:51], v[50:51], v[52:53]
	;; [unrolled: 1-line block ×3, first 2 shown]
	v_add_f64 v[38:39], v[76:77], -v[92:93]
	v_add_f64 v[64:65], v[54:55], -v[82:83]
	;; [unrolled: 1-line block ×3, first 2 shown]
	v_add_f64 v[20:21], v[20:21], v[54:55]
	v_add_f64 v[54:55], v[54:55], -v[116:117]
	v_fma_f64 v[22:23], v[22:23], -0.5, v[132:133]
	v_add_f64 v[92:93], v[114:115], -v[124:125]
	v_add_f64 v[42:43], v[42:43], -v[107:108]
	;; [unrolled: 1-line block ×4, first 2 shown]
	v_add_f64 v[64:65], v[64:65], v[76:77]
	v_add_f64 v[107:108], v[122:123], -v[100:101]
	v_add_f64 v[20:21], v[20:21], v[116:117]
	v_fma_f64 v[46:47], v[44:45], s[16:17], v[22:23]
	v_fma_f64 v[22:23], v[44:45], s[6:7], v[22:23]
	v_add_f64 v[105:106], v[105:106], v[107:108]
	v_add_f64 v[107:108], v[96:97], -v[90:91]
	v_fma_f64 v[46:47], v[48:49], s[18:19], v[46:47]
	v_fma_f64 v[22:23], v[48:49], s[8:9], v[22:23]
	v_add_f64 v[20:21], v[20:21], v[126:127]
	v_add_f64 v[107:108], v[107:108], v[109:110]
	v_fma_f64 v[46:47], v[50:51], s[14:15], v[46:47]
	v_fma_f64 v[22:23], v[50:51], s[14:15], v[22:23]
	v_add_f64 v[50:51], v[82:83], v[126:127]
	v_add_f64 v[109:110], v[98:99], -v[94:95]
	v_fma_f64 v[50:51], v[50:51], -0.5, v[132:133]
	v_fma_f64 v[52:53], v[48:49], s[6:7], v[50:51]
	v_fma_f64 v[48:49], v[48:49], s[16:17], v[50:51]
	;; [unrolled: 1-line block ×4, first 2 shown]
	v_add_f64 v[48:49], v[134:135], v[66:67]
	v_fma_f64 v[52:53], v[64:65], s[14:15], v[52:53]
	v_fma_f64 v[44:45], v[64:65], s[14:15], v[44:45]
	v_add_f64 v[48:49], v[48:49], v[80:81]
	v_add_f64 v[64:65], v[82:83], -v[126:127]
	v_add_f64 v[82:83], v[66:67], -v[80:81]
	v_add_f64 v[48:49], v[48:49], v[124:125]
	v_add_f64 v[82:83], v[82:83], v[92:93]
	;; [unrolled: 1-line block ×4, first 2 shown]
	v_fma_f64 v[48:49], v[48:49], -0.5, v[134:135]
	v_fma_f64 v[76:77], v[64:65], s[6:7], v[48:49]
	v_fma_f64 v[48:49], v[64:65], s[16:17], v[48:49]
	;; [unrolled: 1-line block ×6, first 2 shown]
	v_add_f64 v[48:49], v[66:67], v[114:115]
	v_add_f64 v[66:67], v[80:81], -v[66:67]
	v_add_f64 v[80:81], v[124:125], -v[114:115]
	v_fma_f64 v[48:49], v[48:49], -0.5, v[134:135]
	v_add_f64 v[66:67], v[66:67], v[80:81]
	v_fma_f64 v[92:93], v[54:55], s[16:17], v[48:49]
	v_fma_f64 v[48:49], v[54:55], s[6:7], v[48:49]
	;; [unrolled: 1-line block ×4, first 2 shown]
	v_add_f64 v[64:65], v[96:97], v[100:101]
	v_fma_f64 v[80:81], v[66:67], s[14:15], v[92:93]
	v_fma_f64 v[54:55], v[66:67], s[14:15], v[48:49]
	v_fma_f64 v[64:65], v[64:65], -0.5, v[78:79]
	v_add_f64 v[66:67], v[86:87], -v[98:99]
	v_add_f64 v[48:49], v[78:79], v[90:91]
	v_fma_f64 v[92:93], v[66:67], s[16:17], v[64:65]
	v_fma_f64 v[64:65], v[66:67], s[6:7], v[64:65]
	v_add_f64 v[48:49], v[48:49], v[96:97]
	v_add_f64 v[96:97], v[96:97], -v[100:101]
	v_fma_f64 v[92:93], v[102:103], s[18:19], v[92:93]
	v_fma_f64 v[64:65], v[102:103], s[8:9], v[64:65]
	v_add_f64 v[48:49], v[48:49], v[100:101]
	v_fma_f64 v[92:93], v[105:106], s[14:15], v[92:93]
	v_fma_f64 v[64:65], v[105:106], s[14:15], v[64:65]
	v_add_f64 v[105:106], v[90:91], v[122:123]
	v_add_f64 v[90:91], v[90:91], -v[122:123]
	v_add_f64 v[48:49], v[48:49], v[122:123]
	v_fma_f64 v[78:79], v[105:106], -0.5, v[78:79]
	v_fma_f64 v[105:106], v[102:103], s[6:7], v[78:79]
	v_fma_f64 v[78:79], v[102:103], s[16:17], v[78:79]
	v_add_f64 v[102:103], v[88:89], v[94:95]
	v_fma_f64 v[105:106], v[66:67], s[18:19], v[105:106]
	v_fma_f64 v[66:67], v[66:67], s[8:9], v[78:79]
	v_fma_f64 v[102:103], v[102:103], -0.5, v[84:85]
	v_add_f64 v[78:79], v[84:85], v[86:87]
	v_fma_f64 v[105:106], v[107:108], s[14:15], v[105:106]
	v_fma_f64 v[66:67], v[107:108], s[14:15], v[66:67]
	v_fma_f64 v[107:108], v[90:91], s[6:7], v[102:103]
	v_add_f64 v[78:79], v[78:79], v[88:89]
	v_fma_f64 v[100:101], v[96:97], s[8:9], v[107:108]
	v_add_f64 v[107:108], v[86:87], -v[88:89]
	v_add_f64 v[78:79], v[78:79], v[94:95]
	v_add_f64 v[107:108], v[107:108], v[109:110]
	;; [unrolled: 1-line block ×3, first 2 shown]
	v_fma_f64 v[110:111], v[107:108], s[14:15], v[100:101]
	v_fma_f64 v[100:101], v[90:91], s[16:17], v[102:103]
	;; [unrolled: 1-line block ×4, first 2 shown]
	v_add_f64 v[100:101], v[86:87], v[98:99]
	v_add_f64 v[86:87], v[88:89], -v[86:87]
	v_add_f64 v[88:89], v[94:95], -v[98:99]
	v_fma_f64 v[84:85], v[100:101], -0.5, v[84:85]
	v_add_f64 v[86:87], v[86:87], v[88:89]
	v_fma_f64 v[100:101], v[96:97], s[16:17], v[84:85]
	v_fma_f64 v[84:85], v[96:97], s[6:7], v[84:85]
	;; [unrolled: 1-line block ×4, first 2 shown]
	v_mul_f64 v[90:91], v[110:111], s[20:21]
	v_fma_f64 v[94:95], v[86:87], s[14:15], v[100:101]
	v_fma_f64 v[102:103], v[86:87], s[14:15], v[84:85]
	v_mul_f64 v[86:87], v[110:111], s[18:19]
	v_fma_f64 v[126:127], v[92:93], s[8:9], v[90:91]
	v_add_f64 v[84:85], v[20:21], v[48:49]
	v_add_f64 v[20:21], v[20:21], -v[48:49]
	v_fma_f64 v[114:115], v[92:93], s[20:21], v[86:87]
	v_mul_f64 v[86:87], v[94:95], s[16:17]
	v_mul_f64 v[92:93], v[94:95], s[14:15]
	v_add_f64 v[90:91], v[76:77], v[126:127]
	v_add_f64 v[94:95], v[76:77], -v[126:127]
	v_add_f64 v[88:89], v[46:47], v[114:115]
	v_fma_f64 v[116:117], v[105:106], s[14:15], v[86:87]
	v_mul_f64 v[86:87], v[102:103], s[16:17]
	v_fma_f64 v[105:106], v[105:106], s[6:7], v[92:93]
	v_mul_f64 v[92:93], v[102:103], s[22:23]
	v_add_f64 v[96:97], v[52:53], v[116:117]
	v_fma_f64 v[122:123], v[66:67], s[22:23], v[86:87]
	v_mul_f64 v[86:87], v[112:113], s[18:19]
	v_fma_f64 v[66:67], v[66:67], s[6:7], v[92:93]
	v_mul_f64 v[92:93], v[112:113], s[24:25]
	v_add_f64 v[112:113], v[52:53], -v[116:117]
	v_add_f64 v[98:99], v[80:81], v[105:106]
	v_add_f64 v[100:101], v[44:45], v[122:123]
	v_fma_f64 v[124:125], v[64:65], s[24:25], v[86:87]
	v_add_f64 v[86:87], v[50:51], v[78:79]
	v_fma_f64 v[64:65], v[64:65], s[8:9], v[92:93]
	v_add_f64 v[92:93], v[46:47], -v[114:115]
	v_add_f64 v[48:49], v[44:45], -v[122:123]
	;; [unrolled: 1-line block ×3, first 2 shown]
	v_add_f64 v[102:103], v[54:55], v[66:67]
	v_add_f64 v[108:109], v[22:23], v[124:125]
	v_add_f64 v[44:45], v[22:23], -v[124:125]
	v_add_f64 v[110:111], v[82:83], v[64:65]
	v_add_f64 v[22:23], v[50:51], -v[78:79]
	v_add_f64 v[50:51], v[54:55], -v[66:67]
	;; [unrolled: 1-line block ×3, first 2 shown]
	ds_write_b128 v167, v[163:166]
	ds_write_b128 v167, v[68:71] offset:48
	ds_write_b128 v167, v[72:75] offset:96
	ds_write_b128 v167, v[152:155] offset:144
	ds_write_b128 v167, v[128:131] offset:192
	ds_write_b128 v167, v[240:243] offset:240
	ds_write_b128 v167, v[252:255] offset:288
	ds_write_b128 v167, v[118:121] offset:336
	ds_write_b128 v167, v[56:59] offset:384
	ds_write_b128 v167, v[60:63] offset:432
	ds_write_b128 v172, v[4:7]
	ds_write_b128 v172, v[8:11] offset:48
	ds_write_b128 v172, v[16:19] offset:96
	ds_write_b128 v172, v[24:27] offset:144
	ds_write_b128 v172, v[32:35] offset:192
	ds_write_b128 v172, v[0:3] offset:240
	ds_write_b128 v172, v[12:15] offset:288
	ds_write_b128 v172, v[28:31] offset:336
	ds_write_b128 v172, v[36:39] offset:384
	ds_write_b128 v172, v[40:43] offset:432
	;; [unrolled: 10-line block ×3, first 2 shown]
	s_waitcnt lgkmcnt(0)
	s_barrier
	ds_read_b128 v[8:11], v104
	ds_read_b128 v[12:15], v104 offset:4320
	ds_read_b128 v[16:19], v104 offset:8640
	;; [unrolled: 1-line block ×29, first 2 shown]
	buffer_load_dword v70, off, s[36:39], 0 offset:884 ; 4-byte Folded Reload
	buffer_load_dword v71, off, s[36:39], 0 offset:888 ; 4-byte Folded Reload
	;; [unrolled: 1-line block ×4, first 2 shown]
	s_waitcnt vmcnt(0) lgkmcnt(14)
	v_mul_f64 v[68:69], v[72:73], v[14:15]
	v_fma_f64 v[130:131], v[70:71], v[12:13], v[68:69]
	v_mul_f64 v[12:13], v[72:73], v[12:13]
	v_fma_f64 v[132:133], v[70:71], v[14:15], -v[12:13]
	buffer_load_dword v68, off, s[36:39], 0 offset:900 ; 4-byte Folded Reload
	buffer_load_dword v69, off, s[36:39], 0 offset:904 ; 4-byte Folded Reload
	;; [unrolled: 1-line block ×4, first 2 shown]
	s_waitcnt vmcnt(0)
	v_mul_f64 v[12:13], v[70:71], v[18:19]
	v_fma_f64 v[134:135], v[68:69], v[16:17], v[12:13]
	v_mul_f64 v[12:13], v[70:71], v[16:17]
	buffer_load_dword v14, off, s[36:39], 0 offset:916 ; 4-byte Folded Reload
	buffer_load_dword v15, off, s[36:39], 0 offset:920 ; 4-byte Folded Reload
	;; [unrolled: 1-line block ×4, first 2 shown]
	v_fma_f64 v[160:161], v[68:69], v[18:19], -v[12:13]
	s_waitcnt vmcnt(0)
	v_mul_f64 v[12:13], v[16:17], v[22:23]
	v_fma_f64 v[171:172], v[14:15], v[20:21], v[12:13]
	v_mul_f64 v[12:13], v[16:17], v[20:21]
	buffer_load_dword v18, off, s[36:39], 0 offset:932 ; 4-byte Folded Reload
	buffer_load_dword v19, off, s[36:39], 0 offset:936 ; 4-byte Folded Reload
	;; [unrolled: 1-line block ×4, first 2 shown]
	v_fma_f64 v[14:15], v[14:15], v[22:23], -v[12:13]
	s_waitcnt vmcnt(0)
	v_mul_f64 v[12:13], v[20:21], v[26:27]
	v_fma_f64 v[16:17], v[18:19], v[24:25], v[12:13]
	v_mul_f64 v[12:13], v[20:21], v[24:25]
	v_fma_f64 v[22:23], v[18:19], v[26:27], -v[12:13]
	buffer_load_dword v18, off, s[36:39], 0 offset:996 ; 4-byte Folded Reload
	buffer_load_dword v19, off, s[36:39], 0 offset:1000 ; 4-byte Folded Reload
	buffer_load_dword v20, off, s[36:39], 0 offset:1004 ; 4-byte Folded Reload
	buffer_load_dword v21, off, s[36:39], 0 offset:1008 ; 4-byte Folded Reload
	s_waitcnt vmcnt(0)
	v_mul_f64 v[12:13], v[20:21], v[30:31]
	v_fma_f64 v[24:25], v[18:19], v[28:29], v[12:13]
	v_mul_f64 v[12:13], v[20:21], v[28:29]
	v_fma_f64 v[28:29], v[18:19], v[30:31], -v[12:13]
	buffer_load_dword v18, off, s[36:39], 0 offset:1012 ; 4-byte Folded Reload
	buffer_load_dword v19, off, s[36:39], 0 offset:1016 ; 4-byte Folded Reload
	buffer_load_dword v20, off, s[36:39], 0 offset:1020 ; 4-byte Folded Reload
	buffer_load_dword v21, off, s[36:39], 0 offset:1024 ; 4-byte Folded Reload
	;; [unrolled: 9-line block ×7, first 2 shown]
	v_add_f64 v[50:51], v[160:161], -v[40:41]
	s_waitcnt vmcnt(0)
	v_mul_f64 v[12:13], v[20:21], v[54:55]
	v_fma_f64 v[92:93], v[18:19], v[52:53], v[12:13]
	v_mul_f64 v[12:13], v[20:21], v[52:53]
	v_fma_f64 v[88:89], v[18:19], v[54:55], -v[12:13]
	buffer_load_dword v18, off, s[36:39], 0 offset:1124 ; 4-byte Folded Reload
	buffer_load_dword v19, off, s[36:39], 0 offset:1128 ; 4-byte Folded Reload
	;; [unrolled: 1-line block ×4, first 2 shown]
	v_add_f64 v[54:55], v[22:23], -v[32:33]
	s_waitcnt vmcnt(0)
	v_mul_f64 v[12:13], v[20:21], v[58:59]
	v_fma_f64 v[74:75], v[18:19], v[56:57], v[12:13]
	v_mul_f64 v[12:13], v[20:21], v[56:57]
	v_add_f64 v[56:57], v[134:135], -v[16:17]
	v_fma_f64 v[70:71], v[18:19], v[58:59], -v[12:13]
	buffer_load_dword v18, off, s[36:39], 0 offset:1108 ; 4-byte Folded Reload
	buffer_load_dword v19, off, s[36:39], 0 offset:1112 ; 4-byte Folded Reload
	;; [unrolled: 1-line block ×4, first 2 shown]
	v_add_f64 v[58:59], v[38:39], -v[30:31]
	v_add_f64 v[56:57], v[56:57], v[58:59]
	s_waitcnt vmcnt(0)
	v_mul_f64 v[12:13], v[20:21], v[62:63]
	v_fma_f64 v[94:95], v[18:19], v[60:61], v[12:13]
	v_mul_f64 v[12:13], v[20:21], v[60:61]
	v_add_f64 v[60:61], v[30:31], -v[38:39]
	v_fma_f64 v[90:91], v[18:19], v[62:63], -v[12:13]
	buffer_load_dword v18, off, s[36:39], 0 offset:1140 ; 4-byte Folded Reload
	buffer_load_dword v19, off, s[36:39], 0 offset:1144 ; 4-byte Folded Reload
	;; [unrolled: 1-line block ×4, first 2 shown]
	s_waitcnt vmcnt(0)
	v_mul_f64 v[12:13], v[20:21], v[66:67]
	v_fma_f64 v[78:79], v[18:19], v[64:65], v[12:13]
	v_mul_f64 v[12:13], v[20:21], v[64:65]
	v_fma_f64 v[72:73], v[18:19], v[66:67], -v[12:13]
	buffer_load_dword v18, off, s[36:39], 0 offset:1156 ; 4-byte Folded Reload
	buffer_load_dword v19, off, s[36:39], 0 offset:1160 ; 4-byte Folded Reload
	buffer_load_dword v20, off, s[36:39], 0 offset:1164 ; 4-byte Folded Reload
	buffer_load_dword v21, off, s[36:39], 0 offset:1168 ; 4-byte Folded Reload
	s_waitcnt vmcnt(0) lgkmcnt(13)
	v_mul_f64 v[12:13], v[20:21], v[82:83]
	v_fma_f64 v[98:99], v[18:19], v[80:81], v[12:13]
	v_mul_f64 v[12:13], v[20:21], v[80:81]
	v_fma_f64 v[96:97], v[18:19], v[82:83], -v[12:13]
	buffer_load_dword v18, off, s[36:39], 0 offset:1188 ; 4-byte Folded Reload
	buffer_load_dword v19, off, s[36:39], 0 offset:1192 ; 4-byte Folded Reload
	buffer_load_dword v20, off, s[36:39], 0 offset:1196 ; 4-byte Folded Reload
	buffer_load_dword v21, off, s[36:39], 0 offset:1200 ; 4-byte Folded Reload
	s_waitcnt vmcnt(0) lgkmcnt(12)
	;; [unrolled: 9-line block ×3, first 2 shown]
	v_mul_f64 v[12:13], v[20:21], v[108:109]
	v_fma_f64 v[102:103], v[18:19], v[106:107], v[12:13]
	v_mul_f64 v[12:13], v[20:21], v[106:107]
	v_fma_f64 v[100:101], v[18:19], v[108:109], -v[12:13]
	buffer_load_dword v18, off, s[36:39], 0 offset:1204 ; 4-byte Folded Reload
	buffer_load_dword v19, off, s[36:39], 0 offset:1208 ; 4-byte Folded Reload
	;; [unrolled: 1-line block ×8, first 2 shown]
	s_waitcnt vmcnt(4) lgkmcnt(10)
	v_mul_f64 v[12:13], v[20:21], v[112:113]
	v_fma_f64 v[86:87], v[18:19], v[110:111], v[12:13]
	v_mul_f64 v[12:13], v[20:21], v[110:111]
	v_fma_f64 v[84:85], v[18:19], v[112:113], -v[12:13]
	s_waitcnt vmcnt(0) lgkmcnt(8)
	v_mul_f64 v[12:13], v[48:49], v[116:117]
	v_fma_f64 v[20:21], v[46:47], v[114:115], v[12:13]
	v_mul_f64 v[12:13], v[48:49], v[114:115]
	v_fma_f64 v[12:13], v[46:47], v[116:117], -v[12:13]
	buffer_load_dword v46, off, s[36:39], 0 offset:1300 ; 4-byte Folded Reload
	buffer_load_dword v47, off, s[36:39], 0 offset:1304 ; 4-byte Folded Reload
	;; [unrolled: 1-line block ×4, first 2 shown]
	s_waitcnt vmcnt(0) lgkmcnt(7)
	v_mul_f64 v[18:19], v[48:49], v[120:121]
	v_fma_f64 v[116:117], v[46:47], v[118:119], v[18:19]
	v_mul_f64 v[18:19], v[48:49], v[118:119]
	v_fma_f64 v[112:113], v[46:47], v[120:121], -v[18:19]
	buffer_load_dword v46, off, s[36:39], 0 offset:1316 ; 4-byte Folded Reload
	buffer_load_dword v47, off, s[36:39], 0 offset:1320 ; 4-byte Folded Reload
	;; [unrolled: 1-line block ×4, first 2 shown]
	s_waitcnt vmcnt(0) lgkmcnt(6)
	v_mul_f64 v[18:19], v[48:49], v[124:125]
	v_mul_f64 v[26:27], v[48:49], v[122:123]
	v_fma_f64 v[18:19], v[46:47], v[122:123], v[18:19]
	v_fma_f64 v[120:121], v[46:47], v[124:125], -v[26:27]
	buffer_load_dword v46, off, s[36:39], 0 offset:1332 ; 4-byte Folded Reload
	buffer_load_dword v47, off, s[36:39], 0 offset:1336 ; 4-byte Folded Reload
	;; [unrolled: 1-line block ×4, first 2 shown]
	s_waitcnt vmcnt(0) lgkmcnt(5)
	v_mul_f64 v[26:27], v[48:49], v[128:129]
	v_fma_f64 v[106:107], v[46:47], v[126:127], v[26:27]
	v_mul_f64 v[26:27], v[48:49], v[126:127]
	v_fma_f64 v[114:115], v[46:47], v[128:129], -v[26:27]
	buffer_load_dword v46, off, s[36:39], 0 offset:1380 ; 4-byte Folded Reload
	buffer_load_dword v47, off, s[36:39], 0 offset:1384 ; 4-byte Folded Reload
	;; [unrolled: 1-line block ×4, first 2 shown]
	s_waitcnt lgkmcnt(4)
	v_mul_f64 v[26:27], v[142:143], v[154:155]
	v_fma_f64 v[126:127], v[140:141], v[152:153], v[26:27]
	v_mul_f64 v[26:27], v[142:143], v[152:153]
	v_fma_f64 v[122:123], v[140:141], v[154:155], -v[26:27]
	s_waitcnt vmcnt(0) lgkmcnt(3)
	v_mul_f64 v[26:27], v[48:49], v[165:166]
	v_fma_f64 v[142:143], v[46:47], v[163:164], v[26:27]
	v_mul_f64 v[26:27], v[48:49], v[163:164]
	v_fma_f64 v[118:119], v[46:47], v[165:166], -v[26:27]
	buffer_load_dword v46, off, s[36:39], 0 offset:1396 ; 4-byte Folded Reload
	buffer_load_dword v47, off, s[36:39], 0 offset:1400 ; 4-byte Folded Reload
	buffer_load_dword v48, off, s[36:39], 0 offset:1404 ; 4-byte Folded Reload
	buffer_load_dword v49, off, s[36:39], 0 offset:1408 ; 4-byte Folded Reload
	s_waitcnt vmcnt(0) lgkmcnt(2)
	v_mul_f64 v[26:27], v[48:49], v[169:170]
	v_fma_f64 v[108:109], v[46:47], v[167:168], v[26:27]
	v_mul_f64 v[26:27], v[48:49], v[167:168]
	v_fma_f64 v[124:125], v[46:47], v[169:170], -v[26:27]
	buffer_load_dword v46, off, s[36:39], 0 offset:1428 ; 4-byte Folded Reload
	buffer_load_dword v47, off, s[36:39], 0 offset:1432 ; 4-byte Folded Reload
	buffer_load_dword v48, off, s[36:39], 0 offset:1436 ; 4-byte Folded Reload
	buffer_load_dword v49, off, s[36:39], 0 offset:1440 ; 4-byte Folded Reload
	;; [unrolled: 9-line block ×3, first 2 shown]
	s_waitcnt vmcnt(0) lgkmcnt(0)
	s_barrier
	v_mul_f64 v[26:27], v[48:49], v[242:243]
	v_fma_f64 v[110:111], v[46:47], v[240:241], v[26:27]
	v_mul_f64 v[26:27], v[48:49], v[240:241]
	v_fma_f64 v[26:27], v[46:47], v[242:243], -v[26:27]
	v_add_f64 v[46:47], v[8:9], v[134:135]
	v_add_f64 v[46:47], v[46:47], v[16:17]
	;; [unrolled: 1-line block ×5, first 2 shown]
	v_fma_f64 v[46:47], v[46:47], -0.5, v[8:9]
	v_fma_f64 v[52:53], v[50:51], s[16:17], v[46:47]
	v_fma_f64 v[46:47], v[50:51], s[6:7], v[46:47]
	;; [unrolled: 1-line block ×6, first 2 shown]
	v_add_f64 v[46:47], v[134:135], v[38:39]
	v_add_f64 v[56:57], v[16:17], -v[134:135]
	v_add_f64 v[38:39], v[134:135], -v[38:39]
	;; [unrolled: 1-line block ×3, first 2 shown]
	v_fma_f64 v[8:9], v[46:47], -0.5, v[8:9]
	v_add_f64 v[56:57], v[56:57], v[60:61]
	v_add_f64 v[60:61], v[34:35], -v[42:43]
	v_fma_f64 v[46:47], v[54:55], s[6:7], v[8:9]
	v_fma_f64 v[8:9], v[54:55], s[16:17], v[8:9]
	v_fma_f64 v[46:47], v[50:51], s[18:19], v[46:47]
	v_fma_f64 v[8:9], v[50:51], s[8:9], v[8:9]
	v_fma_f64 v[62:63], v[56:57], s[14:15], v[46:47]
	v_fma_f64 v[50:51], v[56:57], s[14:15], v[8:9]
	v_add_f64 v[8:9], v[10:11], v[160:161]
	v_add_f64 v[56:57], v[40:41], -v[32:33]
	v_add_f64 v[8:9], v[8:9], v[22:23]
	v_add_f64 v[8:9], v[8:9], v[32:33]
	;; [unrolled: 1-line block ×4, first 2 shown]
	v_add_f64 v[32:33], v[32:33], -v[40:41]
	v_fma_f64 v[8:9], v[8:9], -0.5, v[10:11]
	v_fma_f64 v[46:47], v[38:39], s[6:7], v[8:9]
	v_fma_f64 v[8:9], v[38:39], s[16:17], v[8:9]
	;; [unrolled: 1-line block ×3, first 2 shown]
	v_add_f64 v[46:47], v[160:161], -v[22:23]
	v_add_f64 v[22:23], v[22:23], -v[160:161]
	v_fma_f64 v[8:9], v[16:17], s[18:19], v[8:9]
	v_add_f64 v[46:47], v[46:47], v[56:57]
	v_add_f64 v[22:23], v[22:23], v[32:33]
	v_fma_f64 v[128:129], v[46:47], s[14:15], v[30:31]
	v_add_f64 v[30:31], v[160:161], v[40:41]
	v_fma_f64 v[8:9], v[46:47], s[14:15], v[8:9]
	v_add_f64 v[40:41], v[171:172], -v[24:25]
	v_add_f64 v[46:47], v[42:43], -v[34:35]
	v_fma_f64 v[10:11], v[30:31], -0.5, v[10:11]
	v_add_f64 v[40:41], v[40:41], v[46:47]
	v_add_f64 v[46:47], v[24:25], -v[171:172]
	v_fma_f64 v[30:31], v[16:17], s[16:17], v[10:11]
	v_fma_f64 v[10:11], v[16:17], s[6:7], v[10:11]
	v_add_f64 v[16:17], v[130:131], v[171:172]
	v_add_f64 v[46:47], v[46:47], v[60:61]
	v_fma_f64 v[30:31], v[38:39], s[8:9], v[30:31]
	v_fma_f64 v[10:11], v[38:39], s[18:19], v[10:11]
	v_add_f64 v[38:39], v[28:29], -v[36:37]
	v_add_f64 v[16:17], v[16:17], v[24:25]
	v_fma_f64 v[134:135], v[22:23], s[14:15], v[30:31]
	v_fma_f64 v[10:11], v[22:23], s[14:15], v[10:11]
	v_add_f64 v[22:23], v[24:25], v[34:35]
	v_add_f64 v[30:31], v[14:15], -v[44:45]
	v_add_f64 v[16:17], v[16:17], v[34:35]
	v_add_f64 v[24:25], v[24:25], -v[34:35]
	v_fma_f64 v[22:23], v[22:23], -0.5, v[130:131]
	v_add_f64 v[16:17], v[16:17], v[42:43]
	v_fma_f64 v[32:33], v[30:31], s[16:17], v[22:23]
	v_fma_f64 v[22:23], v[30:31], s[6:7], v[22:23]
	;; [unrolled: 1-line block ×5, first 2 shown]
	v_add_f64 v[32:33], v[171:172], v[42:43]
	v_fma_f64 v[22:23], v[40:41], s[14:15], v[22:23]
	v_fma_f64 v[32:33], v[32:33], -0.5, v[130:131]
	v_fma_f64 v[40:41], v[38:39], s[6:7], v[32:33]
	v_fma_f64 v[32:33], v[38:39], s[16:17], v[32:33]
	v_add_f64 v[38:39], v[171:172], -v[42:43]
	v_add_f64 v[42:43], v[44:45], -v[36:37]
	v_fma_f64 v[40:41], v[30:31], s[18:19], v[40:41]
	v_fma_f64 v[30:31], v[30:31], s[8:9], v[32:33]
	v_add_f64 v[32:33], v[132:133], v[14:15]
	v_fma_f64 v[60:61], v[46:47], s[14:15], v[40:41]
	v_fma_f64 v[30:31], v[46:47], s[14:15], v[30:31]
	v_add_f64 v[32:33], v[32:33], v[28:29]
	v_add_f64 v[32:33], v[32:33], v[36:37]
	;; [unrolled: 1-line block ×5, first 2 shown]
	v_fma_f64 v[32:33], v[32:33], -0.5, v[132:133]
	v_add_f64 v[66:67], v[54:55], -v[66:67]
	v_fma_f64 v[40:41], v[38:39], s[6:7], v[32:33]
	v_fma_f64 v[32:33], v[38:39], s[16:17], v[32:33]
	;; [unrolled: 1-line block ×3, first 2 shown]
	v_add_f64 v[40:41], v[14:15], -v[28:29]
	v_fma_f64 v[32:33], v[24:25], s[18:19], v[32:33]
	v_add_f64 v[40:41], v[40:41], v[42:43]
	v_fma_f64 v[64:65], v[40:41], s[14:15], v[32:33]
	v_add_f64 v[32:33], v[14:15], v[44:45]
	v_fma_f64 v[34:35], v[40:41], s[14:15], v[34:35]
	v_add_f64 v[14:15], v[28:29], -v[14:15]
	v_add_f64 v[28:29], v[36:37], -v[44:45]
	v_add_f64 v[44:45], v[48:49], v[16:17]
	v_fma_f64 v[32:33], v[32:33], -0.5, v[132:133]
	v_add_f64 v[14:15], v[14:15], v[28:29]
	v_fma_f64 v[40:41], v[24:25], s[16:17], v[32:33]
	v_fma_f64 v[24:25], v[24:25], s[6:7], v[32:33]
	;; [unrolled: 1-line block ×6, first 2 shown]
	v_mul_f64 v[24:25], v[34:35], s[18:19]
	v_mul_f64 v[34:35], v[34:35], s[20:21]
	;; [unrolled: 1-line block ×3, first 2 shown]
	v_fma_f64 v[24:25], v[56:57], s[20:21], v[24:25]
	v_fma_f64 v[163:164], v[56:57], s[8:9], v[34:35]
	v_mul_f64 v[34:35], v[130:131], s[14:15]
	v_fma_f64 v[132:133], v[60:61], s[14:15], v[28:29]
	v_mul_f64 v[28:29], v[14:15], s[16:17]
	v_mul_f64 v[14:15], v[14:15], s[22:23]
	v_add_f64 v[40:41], v[52:53], v[24:25]
	v_fma_f64 v[130:131], v[60:61], s[6:7], v[34:35]
	v_add_f64 v[42:43], v[128:129], v[163:164]
	v_add_f64 v[60:61], v[52:53], -v[24:25]
	v_add_f64 v[24:25], v[92:93], -v[94:95]
	v_add_f64 v[36:37], v[62:63], v[132:133]
	v_fma_f64 v[154:155], v[30:31], s[22:23], v[28:29]
	v_fma_f64 v[14:15], v[30:31], s[6:7], v[14:15]
	v_mul_f64 v[28:29], v[64:65], s[18:19]
	v_mul_f64 v[30:31], v[64:65], s[24:25]
	v_add_f64 v[64:65], v[48:49], -v[16:17]
	v_add_f64 v[56:57], v[62:63], -v[132:133]
	;; [unrolled: 1-line block ×4, first 2 shown]
	v_add_f64 v[32:33], v[50:51], v[154:155]
	v_add_f64 v[34:35], v[10:11], v[14:15]
	v_add_f64 v[54:55], v[10:11], -v[14:15]
	v_add_f64 v[10:11], v[94:95], v[98:99]
	v_fma_f64 v[160:161], v[22:23], s[24:25], v[28:29]
	v_fma_f64 v[22:23], v[22:23], s[8:9], v[30:31]
	v_add_f64 v[14:15], v[88:89], -v[100:101]
	v_add_f64 v[52:53], v[50:51], -v[154:155]
	v_add_f64 v[24:25], v[24:25], v[128:129]
	v_add_f64 v[38:39], v[134:135], v[130:131]
	v_add_f64 v[128:129], v[94:95], -v[92:93]
	v_fma_f64 v[10:11], v[10:11], -0.5, v[4:5]
	v_add_f64 v[28:29], v[58:59], v[160:161]
	v_add_f64 v[30:31], v[8:9], v[22:23]
	v_add_f64 v[50:51], v[8:9], -v[22:23]
	v_add_f64 v[22:23], v[90:91], -v[96:97]
	v_add_f64 v[8:9], v[4:5], v[92:93]
	v_add_f64 v[48:49], v[58:59], -v[160:161]
	v_add_f64 v[58:59], v[134:135], -v[130:131]
	v_fma_f64 v[16:17], v[14:15], s[16:17], v[10:11]
	v_fma_f64 v[10:11], v[14:15], s[6:7], v[10:11]
	v_add_f64 v[130:131], v[98:99], -v[102:103]
	v_add_f64 v[8:9], v[8:9], v[94:95]
	v_add_f64 v[94:95], v[94:95], -v[98:99]
	v_fma_f64 v[16:17], v[22:23], s[18:19], v[16:17]
	v_fma_f64 v[10:11], v[22:23], s[8:9], v[10:11]
	v_add_f64 v[128:129], v[128:129], v[130:131]
	v_add_f64 v[8:9], v[8:9], v[98:99]
	v_fma_f64 v[16:17], v[24:25], s[14:15], v[16:17]
	v_fma_f64 v[10:11], v[24:25], s[14:15], v[10:11]
	v_add_f64 v[24:25], v[92:93], v[102:103]
	v_add_f64 v[92:93], v[92:93], -v[102:103]
	v_add_f64 v[8:9], v[8:9], v[102:103]
	v_fma_f64 v[4:5], v[24:25], -0.5, v[4:5]
	v_fma_f64 v[24:25], v[22:23], s[6:7], v[4:5]
	v_fma_f64 v[4:5], v[22:23], s[16:17], v[4:5]
	v_add_f64 v[22:23], v[90:91], v[96:97]
	v_fma_f64 v[24:25], v[14:15], s[18:19], v[24:25]
	v_fma_f64 v[4:5], v[14:15], s[8:9], v[4:5]
	v_fma_f64 v[22:23], v[22:23], -0.5, v[6:7]
	v_add_f64 v[14:15], v[6:7], v[88:89]
	v_fma_f64 v[24:25], v[128:129], s[14:15], v[24:25]
	v_fma_f64 v[4:5], v[128:129], s[14:15], v[4:5]
	;; [unrolled: 1-line block ×3, first 2 shown]
	v_add_f64 v[128:129], v[100:101], -v[96:97]
	v_add_f64 v[14:15], v[14:15], v[90:91]
	v_fma_f64 v[22:23], v[92:93], s[16:17], v[22:23]
	v_fma_f64 v[98:99], v[94:95], s[8:9], v[102:103]
	v_add_f64 v[102:103], v[88:89], -v[90:91]
	v_add_f64 v[14:15], v[14:15], v[96:97]
	v_fma_f64 v[22:23], v[94:95], s[18:19], v[22:23]
	v_add_f64 v[102:103], v[102:103], v[128:129]
	v_add_f64 v[14:15], v[14:15], v[100:101]
	v_fma_f64 v[128:129], v[102:103], s[14:15], v[98:99]
	v_add_f64 v[98:99], v[88:89], v[100:101]
	v_add_f64 v[88:89], v[90:91], -v[88:89]
	v_add_f64 v[90:91], v[96:97], -v[100:101]
	;; [unrolled: 1-line block ×4, first 2 shown]
	v_fma_f64 v[22:23], v[102:103], s[14:15], v[22:23]
	v_fma_f64 v[6:7], v[98:99], -0.5, v[6:7]
	v_add_f64 v[88:89], v[88:89], v[90:91]
	v_add_f64 v[90:91], v[70:71], -v[84:85]
	v_fma_f64 v[98:99], v[94:95], s[16:17], v[6:7]
	v_fma_f64 v[6:7], v[94:95], s[6:7], v[6:7]
	;; [unrolled: 1-line block ×6, first 2 shown]
	v_add_f64 v[88:89], v[76:77], v[74:75]
	v_add_f64 v[98:99], v[74:75], -v[78:79]
	v_add_f64 v[88:89], v[88:89], v[78:79]
	v_add_f64 v[98:99], v[98:99], v[100:101]
	v_add_f64 v[100:101], v[82:83], -v[86:87]
	v_add_f64 v[88:89], v[88:89], v[82:83]
	v_add_f64 v[92:93], v[88:89], v[86:87]
	;; [unrolled: 1-line block ×3, first 2 shown]
	v_add_f64 v[252:253], v[8:9], -v[92:93]
	v_fma_f64 v[88:89], v[88:89], -0.5, v[76:77]
	v_fma_f64 v[94:95], v[90:91], s[16:17], v[88:89]
	v_fma_f64 v[88:89], v[90:91], s[6:7], v[88:89]
	;; [unrolled: 1-line block ×6, first 2 shown]
	v_add_f64 v[88:89], v[74:75], v[86:87]
	v_add_f64 v[98:99], v[78:79], -v[74:75]
	v_add_f64 v[74:75], v[74:75], -v[86:87]
	;; [unrolled: 1-line block ×3, first 2 shown]
	v_fma_f64 v[76:77], v[88:89], -0.5, v[76:77]
	v_add_f64 v[98:99], v[98:99], v[100:101]
	v_add_f64 v[100:101], v[8:9], v[92:93]
	v_fma_f64 v[88:89], v[96:97], s[6:7], v[76:77]
	v_fma_f64 v[76:77], v[96:97], s[16:17], v[76:77]
	;; [unrolled: 1-line block ×6, first 2 shown]
	v_add_f64 v[76:77], v[68:69], v[70:71]
	v_add_f64 v[88:89], v[84:85], -v[80:81]
	v_add_f64 v[76:77], v[76:77], v[72:73]
	v_add_f64 v[76:77], v[76:77], v[80:81]
	;; [unrolled: 1-line block ×5, first 2 shown]
	v_fma_f64 v[76:77], v[76:77], -0.5, v[68:69]
	v_add_f64 v[254:255], v[14:15], -v[160:161]
	v_fma_f64 v[86:87], v[74:75], s[6:7], v[76:77]
	v_fma_f64 v[76:77], v[74:75], s[16:17], v[76:77]
	;; [unrolled: 1-line block ×3, first 2 shown]
	v_add_f64 v[86:87], v[70:71], -v[72:73]
	v_fma_f64 v[76:77], v[78:79], s[18:19], v[76:77]
	v_add_f64 v[86:87], v[86:87], v[88:89]
	v_fma_f64 v[163:164], v[86:87], s[14:15], v[76:77]
	v_add_f64 v[76:77], v[70:71], v[84:85]
	v_add_f64 v[70:71], v[72:73], -v[70:71]
	v_add_f64 v[72:73], v[80:81], -v[84:85]
	v_fma_f64 v[82:83], v[86:87], s[14:15], v[82:83]
	v_fma_f64 v[68:69], v[76:77], -0.5, v[68:69]
	v_add_f64 v[70:71], v[70:71], v[72:73]
	v_fma_f64 v[76:77], v[78:79], s[16:17], v[68:69]
	v_fma_f64 v[68:69], v[78:79], s[6:7], v[68:69]
	v_mul_f64 v[78:79], v[82:83], s[20:21]
	v_fma_f64 v[76:77], v[74:75], s[8:9], v[76:77]
	v_fma_f64 v[68:69], v[74:75], s[18:19], v[68:69]
	;; [unrolled: 1-line block ×4, first 2 shown]
	v_mul_f64 v[70:71], v[82:83], s[18:19]
	v_fma_f64 v[82:83], v[94:95], s[8:9], v[78:79]
	v_mul_f64 v[74:75], v[72:73], s[16:17]
	v_mul_f64 v[76:77], v[68:69], s[16:17]
	v_mul_f64 v[72:73], v[72:73], s[14:15]
	v_mul_f64 v[68:69], v[68:69], s[22:23]
	v_fma_f64 v[70:71], v[94:95], s[20:21], v[70:71]
	v_add_f64 v[98:99], v[128:129], v[82:83]
	v_add_f64 v[94:95], v[128:129], -v[82:83]
	v_fma_f64 v[74:75], v[134:135], s[14:15], v[74:75]
	v_fma_f64 v[165:166], v[154:155], s[22:23], v[76:77]
	;; [unrolled: 1-line block ×3, first 2 shown]
	v_mul_f64 v[76:77], v[163:164], s[18:19]
	v_fma_f64 v[154:155], v[154:155], s[6:7], v[68:69]
	v_mul_f64 v[68:69], v[163:164], s[24:25]
	v_add_f64 v[96:97], v[16:17], v[70:71]
	v_add_f64 v[92:93], v[16:17], -v[70:71]
	v_add_f64 v[88:89], v[24:25], v[74:75]
	v_add_f64 v[84:85], v[4:5], v[165:166]
	v_add_f64 v[72:73], v[4:5], -v[165:166]
	v_add_f64 v[4:5], v[0:1], v[116:117]
	v_fma_f64 v[167:168], v[132:133], s[24:25], v[76:77]
	v_add_f64 v[86:87], v[6:7], v[154:155]
	v_fma_f64 v[132:133], v[132:133], s[8:9], v[68:69]
	v_add_f64 v[80:81], v[24:25], -v[74:75]
	v_add_f64 v[74:75], v[6:7], -v[154:155]
	;; [unrolled: 1-line block ×4, first 2 shown]
	v_add_f64 v[4:5], v[4:5], v[106:107]
	v_add_f64 v[76:77], v[10:11], v[167:168]
	v_add_f64 v[68:69], v[10:11], -v[167:168]
	v_add_f64 v[78:79], v[22:23], v[132:133]
	v_add_f64 v[70:71], v[22:23], -v[132:133]
	v_add_f64 v[10:11], v[114:115], -v[118:119]
	;; [unrolled: 1-line block ×3, first 2 shown]
	v_add_f64 v[90:91], v[130:131], v[134:135]
	v_add_f64 v[4:5], v[4:5], v[142:143]
	v_add_f64 v[82:83], v[130:131], -v[134:135]
	v_add_f64 v[16:17], v[16:17], v[22:23]
	v_add_f64 v[22:23], v[110:111], -v[108:109]
	v_add_f64 v[14:15], v[4:5], v[152:153]
	v_add_f64 v[4:5], v[106:107], v[142:143]
	v_fma_f64 v[4:5], v[4:5], -0.5, v[0:1]
	v_fma_f64 v[8:9], v[6:7], s[16:17], v[4:5]
	v_fma_f64 v[4:5], v[6:7], s[6:7], v[4:5]
	;; [unrolled: 1-line block ×6, first 2 shown]
	v_add_f64 v[4:5], v[116:117], v[152:153]
	v_add_f64 v[8:9], v[106:107], -v[116:117]
	v_add_f64 v[16:17], v[142:143], -v[152:153]
	v_fma_f64 v[0:1], v[4:5], -0.5, v[0:1]
	v_add_f64 v[8:9], v[8:9], v[16:17]
	v_add_f64 v[16:17], v[140:141], -v[118:119]
	v_fma_f64 v[4:5], v[10:11], s[6:7], v[0:1]
	v_fma_f64 v[0:1], v[10:11], s[16:17], v[0:1]
	v_add_f64 v[10:11], v[112:113], -v[114:115]
	v_fma_f64 v[4:5], v[6:7], s[18:19], v[4:5]
	v_fma_f64 v[0:1], v[6:7], s[8:9], v[0:1]
	v_add_f64 v[10:11], v[10:11], v[16:17]
	v_add_f64 v[16:17], v[18:19], -v[126:127]
	v_fma_f64 v[132:133], v[8:9], s[14:15], v[4:5]
	v_fma_f64 v[134:135], v[8:9], s[14:15], v[0:1]
	v_add_f64 v[0:1], v[2:3], v[112:113]
	v_add_f64 v[4:5], v[116:117], -v[152:153]
	v_add_f64 v[8:9], v[106:107], -v[142:143]
	v_add_f64 v[16:17], v[16:17], v[22:23]
	v_add_f64 v[0:1], v[0:1], v[114:115]
	;; [unrolled: 1-line block ×5, first 2 shown]
	v_fma_f64 v[0:1], v[0:1], -0.5, v[2:3]
	v_fma_f64 v[6:7], v[4:5], s[6:7], v[0:1]
	v_fma_f64 v[0:1], v[4:5], s[16:17], v[0:1]
	;; [unrolled: 1-line block ×6, first 2 shown]
	v_add_f64 v[0:1], v[112:113], v[140:141]
	v_add_f64 v[6:7], v[114:115], -v[112:113]
	v_add_f64 v[10:11], v[118:119], -v[140:141]
	v_fma_f64 v[0:1], v[0:1], -0.5, v[2:3]
	v_add_f64 v[6:7], v[6:7], v[10:11]
	v_add_f64 v[10:11], v[122:123], -v[124:125]
	v_fma_f64 v[2:3], v[8:9], s[16:17], v[0:1]
	v_fma_f64 v[0:1], v[8:9], s[6:7], v[0:1]
	v_fma_f64 v[2:3], v[4:5], s[8:9], v[2:3]
	v_fma_f64 v[0:1], v[4:5], s[18:19], v[0:1]
	v_add_f64 v[4:5], v[126:127], v[108:109]
	v_fma_f64 v[2:3], v[6:7], s[14:15], v[2:3]
	v_fma_f64 v[112:113], v[6:7], s[14:15], v[0:1]
	v_fma_f64 v[4:5], v[4:5], -0.5, v[20:21]
	v_add_f64 v[6:7], v[120:121], -v[26:27]
	v_add_f64 v[0:1], v[20:21], v[18:19]
	v_fma_f64 v[8:9], v[6:7], s[16:17], v[4:5]
	v_fma_f64 v[4:5], v[6:7], s[6:7], v[4:5]
	v_add_f64 v[0:1], v[0:1], v[126:127]
	v_fma_f64 v[8:9], v[10:11], s[18:19], v[8:9]
	v_fma_f64 v[4:5], v[10:11], s[8:9], v[4:5]
	;; [unrolled: 3-line block ×3, first 2 shown]
	v_add_f64 v[4:5], v[18:19], v[110:111]
	v_add_f64 v[16:17], v[126:127], -v[18:19]
	v_add_f64 v[0:1], v[0:1], v[110:111]
	v_fma_f64 v[4:5], v[4:5], -0.5, v[20:21]
	v_add_f64 v[20:21], v[108:109], -v[110:111]
	v_fma_f64 v[8:9], v[10:11], s[6:7], v[4:5]
	v_fma_f64 v[4:5], v[10:11], s[16:17], v[4:5]
	v_add_f64 v[16:17], v[16:17], v[20:21]
	v_add_f64 v[20:21], v[26:27], -v[124:125]
	v_fma_f64 v[8:9], v[6:7], s[18:19], v[8:9]
	v_fma_f64 v[4:5], v[6:7], s[8:9], v[4:5]
	;; [unrolled: 1-line block ×4, first 2 shown]
	v_add_f64 v[4:5], v[12:13], v[120:121]
	v_add_f64 v[8:9], v[18:19], -v[110:111]
	v_add_f64 v[16:17], v[126:127], -v[108:109]
	;; [unrolled: 1-line block ×3, first 2 shown]
	v_add_f64 v[4:5], v[4:5], v[122:123]
	v_add_f64 v[18:19], v[18:19], v[20:21]
	v_add_f64 v[20:21], v[124:125], -v[26:27]
	v_add_f64 v[4:5], v[4:5], v[124:125]
	v_add_f64 v[142:143], v[4:5], v[26:27]
	;; [unrolled: 1-line block ×4, first 2 shown]
	v_fma_f64 v[4:5], v[4:5], -0.5, v[12:13]
	v_fma_f64 v[10:11], v[8:9], s[6:7], v[4:5]
	v_fma_f64 v[4:5], v[8:9], s[16:17], v[4:5]
	v_fma_f64 v[10:11], v[16:17], s[8:9], v[10:11]
	v_fma_f64 v[4:5], v[16:17], s[18:19], v[4:5]
	v_fma_f64 v[10:11], v[18:19], s[14:15], v[10:11]
	v_fma_f64 v[107:108], v[18:19], s[14:15], v[4:5]
	v_add_f64 v[4:5], v[120:121], v[26:27]
	v_add_f64 v[18:19], v[122:123], -v[120:121]
	v_fma_f64 v[4:5], v[4:5], -0.5, v[12:13]
	v_add_f64 v[18:19], v[18:19], v[20:21]
	v_add_f64 v[20:21], v[14:15], v[0:1]
	v_fma_f64 v[12:13], v[16:17], s[16:17], v[4:5]
	v_fma_f64 v[4:5], v[16:17], s[6:7], v[4:5]
	;; [unrolled: 1-line block ×6, first 2 shown]
	v_mul_f64 v[4:5], v[10:11], s[18:19]
	v_mul_f64 v[10:11], v[10:11], s[20:21]
	;; [unrolled: 1-line block ×3, first 2 shown]
	v_fma_f64 v[109:110], v[24:25], s[20:21], v[4:5]
	v_mul_f64 v[4:5], v[12:13], s[16:17]
	v_fma_f64 v[126:127], v[24:25], s[8:9], v[10:11]
	v_mul_f64 v[10:11], v[12:13], s[14:15]
	v_mul_f64 v[12:13], v[26:27], s[22:23]
	v_fma_f64 v[124:125], v[114:115], s[24:25], v[18:19]
	v_add_f64 v[24:25], v[14:15], -v[0:1]
	v_add_f64 v[16:17], v[128:129], v[109:110]
	v_fma_f64 v[120:121], v[118:119], s[14:15], v[4:5]
	v_mul_f64 v[4:5], v[26:27], s[16:17]
	v_fma_f64 v[118:119], v[118:119], s[6:7], v[10:11]
	v_fma_f64 v[163:164], v[6:7], s[6:7], v[12:13]
	v_mul_f64 v[12:13], v[107:108], s[24:25]
	v_add_f64 v[18:19], v[105:106], v[126:127]
	v_add_f64 v[26:27], v[160:161], -v[142:143]
	v_add_f64 v[14:15], v[105:106], -v[126:127]
	v_add_f64 v[8:9], v[132:133], v[120:121]
	v_fma_f64 v[122:123], v[6:7], s[22:23], v[4:5]
	v_add_f64 v[10:11], v[2:3], v[118:119]
	v_add_f64 v[6:7], v[112:113], v[163:164]
	v_fma_f64 v[107:108], v[114:115], s[8:9], v[12:13]
	v_add_f64 v[12:13], v[128:129], -v[109:110]
	v_add_f64 v[0:1], v[132:133], -v[120:121]
	v_add_f64 v[2:3], v[2:3], -v[118:119]
	v_add_f64 v[152:153], v[130:131], v[124:125]
	v_add_f64 v[4:5], v[134:135], v[122:123]
	v_add_f64 v[140:141], v[134:135], -v[122:123]
	v_add_f64 v[128:129], v[130:131], -v[124:125]
	v_add_f64 v[154:155], v[116:117], v[107:108]
	v_add_f64 v[142:143], v[112:113], -v[163:164]
	v_add_f64 v[130:131], v[116:117], -v[107:108]
	ds_write_b128 v162, v[44:47]
	ds_write_b128 v162, v[40:43] offset:480
	ds_write_b128 v162, v[36:39] offset:960
	ds_write_b128 v162, v[32:35] offset:1440
	ds_write_b128 v162, v[28:31] offset:1920
	ds_write_b128 v162, v[64:67] offset:2400
	ds_write_b128 v162, v[60:63] offset:2880
	ds_write_b128 v162, v[56:59] offset:3360
	ds_write_b128 v162, v[52:55] offset:3840
	ds_write_b128 v162, v[48:51] offset:4320
	ds_write_b128 v174, v[100:103]
	ds_write_b128 v174, v[96:99] offset:480
	ds_write_b128 v174, v[88:91] offset:960
	ds_write_b128 v174, v[84:87] offset:1440
	ds_write_b128 v174, v[76:79] offset:1920
	ds_write_b128 v174, v[252:255] offset:2400
	ds_write_b128 v174, v[92:95] offset:2880
	ds_write_b128 v174, v[80:83] offset:3360
	ds_write_b128 v174, v[72:75] offset:3840
	ds_write_b128 v174, v[68:71] offset:4320
	;; [unrolled: 10-line block ×3, first 2 shown]
	s_waitcnt lgkmcnt(0)
	s_barrier
	ds_read_b128 v[40:43], v104
	ds_read_b128 v[36:39], v104 offset:14400
	ds_read_b128 v[44:47], v104 offset:28800
	;; [unrolled: 1-line block ×29, first 2 shown]
	buffer_load_dword v124, off, s[36:39], 0 offset:1220 ; 4-byte Folded Reload
	buffer_load_dword v125, off, s[36:39], 0 offset:1224 ; 4-byte Folded Reload
	;; [unrolled: 1-line block ×8, first 2 shown]
	s_mul_hi_u32 s6, s0, 0xffff9520
	s_sub_i32 s6, s6, s0
	s_waitcnt vmcnt(4) lgkmcnt(14)
	v_mul_f64 v[122:123], v[126:127], v[38:39]
	v_fma_f64 v[122:123], v[124:125], v[36:37], v[122:123]
	v_mul_f64 v[36:37], v[126:127], v[36:37]
	v_fma_f64 v[124:125], v[124:125], v[38:39], -v[36:37]
	s_waitcnt vmcnt(0)
	v_mul_f64 v[36:37], v[130:131], v[46:47]
	v_fma_f64 v[126:127], v[128:129], v[44:45], v[36:37]
	v_mul_f64 v[36:37], v[130:131], v[44:45]
	buffer_load_dword v130, off, s[36:39], 0 offset:1252 ; 4-byte Folded Reload
	buffer_load_dword v131, off, s[36:39], 0 offset:1256 ; 4-byte Folded Reload
	;; [unrolled: 1-line block ×4, first 2 shown]
	v_add_f64 v[38:39], v[122:123], v[126:127]
	v_fma_f64 v[46:47], v[128:129], v[46:47], -v[36:37]
	v_fma_f64 v[38:39], v[38:39], -0.5, v[40:41]
	s_waitcnt vmcnt(0)
	v_mul_f64 v[36:37], v[132:133], v[50:51]
	v_fma_f64 v[128:129], v[130:131], v[48:49], v[36:37]
	v_mul_f64 v[36:37], v[132:133], v[48:49]
	v_fma_f64 v[48:49], v[130:131], v[50:51], -v[36:37]
	buffer_load_dword v130, off, s[36:39], 0 offset:1268 ; 4-byte Folded Reload
	buffer_load_dword v131, off, s[36:39], 0 offset:1272 ; 4-byte Folded Reload
	buffer_load_dword v132, off, s[36:39], 0 offset:1276 ; 4-byte Folded Reload
	buffer_load_dword v133, off, s[36:39], 0 offset:1280 ; 4-byte Folded Reload
	s_waitcnt vmcnt(0)
	v_mul_f64 v[36:37], v[132:133], v[54:55]
	v_fma_f64 v[50:51], v[130:131], v[52:53], v[36:37]
	v_mul_f64 v[36:37], v[132:133], v[52:53]
	v_fma_f64 v[52:53], v[130:131], v[54:55], -v[36:37]
	buffer_load_dword v130, off, s[36:39], 0 offset:1348 ; 4-byte Folded Reload
	buffer_load_dword v131, off, s[36:39], 0 offset:1352 ; 4-byte Folded Reload
	buffer_load_dword v132, off, s[36:39], 0 offset:1356 ; 4-byte Folded Reload
	buffer_load_dword v133, off, s[36:39], 0 offset:1360 ; 4-byte Folded Reload
	;; [unrolled: 9-line block ×7, first 2 shown]
	s_waitcnt vmcnt(0)
	v_mul_f64 v[36:37], v[132:133], v[78:79]
	v_fma_f64 v[74:75], v[130:131], v[76:77], v[36:37]
	v_mul_f64 v[36:37], v[132:133], v[76:77]
	buffer_load_dword v132, off, s[36:39], 0 offset:1508 ; 4-byte Folded Reload
	buffer_load_dword v133, off, s[36:39], 0 offset:1512 ; 4-byte Folded Reload
	;; [unrolled: 1-line block ×4, first 2 shown]
	v_add_f64 v[76:77], v[122:123], -v[126:127]
	v_fma_f64 v[78:79], v[130:131], v[78:79], -v[36:37]
	s_waitcnt vmcnt(0) lgkmcnt(13)
	v_mul_f64 v[36:37], v[134:135], v[82:83]
	v_fma_f64 v[130:131], v[132:133], v[80:81], v[36:37]
	v_mul_f64 v[36:37], v[134:135], v[80:81]
	v_fma_f64 v[132:133], v[132:133], v[82:83], -v[36:37]
	buffer_load_dword v80, off, s[36:39], 0 offset:1524 ; 4-byte Folded Reload
	buffer_load_dword v81, off, s[36:39], 0 offset:1528 ; 4-byte Folded Reload
	buffer_load_dword v82, off, s[36:39], 0 offset:1532 ; 4-byte Folded Reload
	buffer_load_dword v83, off, s[36:39], 0 offset:1536 ; 4-byte Folded Reload
	s_waitcnt vmcnt(0) lgkmcnt(12)
	v_mul_f64 v[36:37], v[82:83], v[86:87]
	v_fma_f64 v[134:135], v[80:81], v[84:85], v[36:37]
	v_mul_f64 v[36:37], v[82:83], v[84:85]
	v_fma_f64 v[140:141], v[80:81], v[86:87], -v[36:37]
	buffer_load_dword v80, off, s[36:39], 0 offset:1552 ; 4-byte Folded Reload
	buffer_load_dword v81, off, s[36:39], 0 offset:1556 ; 4-byte Folded Reload
	buffer_load_dword v82, off, s[36:39], 0 offset:1560 ; 4-byte Folded Reload
	buffer_load_dword v83, off, s[36:39], 0 offset:1564 ; 4-byte Folded Reload
	;; [unrolled: 9-line block ×3, first 2 shown]
	s_waitcnt vmcnt(0) lgkmcnt(0)
	s_barrier
	v_mul_f64 v[36:37], v[82:83], v[94:95]
	v_fma_f64 v[154:155], v[80:81], v[92:93], v[36:37]
	v_mul_f64 v[36:37], v[82:83], v[92:93]
	v_fma_f64 v[160:161], v[80:81], v[94:95], -v[36:37]
	v_mul_f64 v[36:37], v[238:239], v[98:99]
	v_fma_f64 v[162:163], v[236:237], v[96:97], v[36:37]
	v_mul_f64 v[36:37], v[238:239], v[96:97]
	v_fma_f64 v[164:165], v[236:237], v[98:99], -v[36:37]
	;; [unrolled: 4-line block ×7, first 2 shown]
	v_add_f64 v[36:37], v[40:41], v[122:123]
	v_add_f64 v[40:41], v[124:125], -v[46:47]
	v_add_f64 v[122:123], v[215:216], -v[185:186]
	v_add_f64 v[36:37], v[36:37], v[126:127]
	v_fma_f64 v[44:45], v[40:41], s[2:3], v[38:39]
	v_fma_f64 v[40:41], v[40:41], s[4:5], v[38:39]
	v_add_f64 v[38:39], v[42:43], v[124:125]
	v_add_f64 v[38:39], v[38:39], v[46:47]
	;; [unrolled: 1-line block ×3, first 2 shown]
	v_fma_f64 v[42:43], v[46:47], -0.5, v[42:43]
	v_fma_f64 v[46:47], v[76:77], s[4:5], v[42:43]
	v_fma_f64 v[42:43], v[76:77], s[2:3], v[42:43]
	v_add_f64 v[76:77], v[32:33], v[128:129]
	v_add_f64 v[84:85], v[76:77], v[50:51]
	v_add_f64 v[76:77], v[128:129], v[50:51]
	v_fma_f64 v[32:33], v[76:77], -0.5, v[32:33]
	v_add_f64 v[76:77], v[48:49], -v[52:53]
	v_fma_f64 v[92:93], v[76:77], s[2:3], v[32:33]
	v_fma_f64 v[88:89], v[76:77], s[4:5], v[32:33]
	v_add_f64 v[32:33], v[34:35], v[48:49]
	v_add_f64 v[86:87], v[32:33], v[52:53]
	v_add_f64 v[32:33], v[48:49], v[52:53]
	v_fma_f64 v[32:33], v[32:33], -0.5, v[34:35]
	v_add_f64 v[34:35], v[128:129], -v[50:51]
	;; [unrolled: 7-line block ×4, first 2 shown]
	v_fma_f64 v[102:103], v[30:31], s[4:5], v[28:29]
	v_fma_f64 v[108:109], v[30:31], s[2:3], v[28:29]
	v_add_f64 v[28:29], v[24:25], v[62:63]
	ds_write_b128 v104, v[36:39]
	ds_write_b128 v104, v[44:47] offset:4800
	ds_write_b128 v104, v[40:43] offset:9600
	;; [unrolled: 1-line block ×8, first 2 shown]
	buffer_load_dword v36, off, s[36:39], 0 offset:1652 ; 4-byte Folded Reload
	v_add_f64 v[110:111], v[28:29], v[66:67]
	v_add_f64 v[28:29], v[62:63], v[66:67]
	v_fma_f64 v[24:25], v[28:29], -0.5, v[24:25]
	v_add_f64 v[28:29], v[64:65], -v[68:69]
	v_fma_f64 v[114:115], v[28:29], s[2:3], v[24:25]
	v_fma_f64 v[118:119], v[28:29], s[4:5], v[24:25]
	v_add_f64 v[24:25], v[26:27], v[64:65]
	v_add_f64 v[112:113], v[24:25], v[68:69]
	v_add_f64 v[24:25], v[64:65], v[68:69]
	v_fma_f64 v[24:25], v[24:25], -0.5, v[26:27]
	v_add_f64 v[26:27], v[62:63], -v[66:67]
	v_fma_f64 v[116:117], v[26:27], s[4:5], v[24:25]
	v_fma_f64 v[120:121], v[26:27], s[2:3], v[24:25]
	v_add_f64 v[24:25], v[20:21], v[70:71]
	;; [unrolled: 7-line block ×5, first 2 shown]
	v_add_f64 v[74:75], v[16:17], v[140:141]
	v_add_f64 v[16:17], v[132:133], v[140:141]
	v_fma_f64 v[16:17], v[16:17], -0.5, v[18:19]
	v_add_f64 v[18:19], v[130:131], -v[134:135]
	v_fma_f64 v[70:71], v[18:19], s[4:5], v[16:17]
	v_fma_f64 v[54:55], v[18:19], s[2:3], v[16:17]
	s_waitcnt vmcnt(0)
	ds_write_b128 v36, v[110:113]
	ds_write_b128 v36, v[114:117] offset:4800
	ds_write_b128 v36, v[118:121] offset:9600
	;; [unrolled: 1-line block ×8, first 2 shown]
	buffer_load_dword v36, off, s[36:39], 0 offset:1616 ; 4-byte Folded Reload
	v_add_f64 v[16:17], v[12:13], v[142:143]
	v_add_f64 v[64:65], v[16:17], v[154:155]
	;; [unrolled: 1-line block ×3, first 2 shown]
	v_fma_f64 v[12:13], v[16:17], -0.5, v[12:13]
	v_add_f64 v[16:17], v[152:153], -v[160:161]
	v_fma_f64 v[60:61], v[16:17], s[2:3], v[12:13]
	v_fma_f64 v[48:49], v[16:17], s[4:5], v[12:13]
	v_add_f64 v[12:13], v[14:15], v[152:153]
	v_add_f64 v[66:67], v[12:13], v[160:161]
	;; [unrolled: 1-line block ×3, first 2 shown]
	v_fma_f64 v[12:13], v[12:13], -0.5, v[14:15]
	v_add_f64 v[14:15], v[142:143], -v[154:155]
	v_fma_f64 v[62:63], v[14:15], s[4:5], v[12:13]
	v_fma_f64 v[50:51], v[14:15], s[2:3], v[12:13]
	s_waitcnt vmcnt(0)
	ds_write_b128 v36, v[64:67]
	ds_write_b128 v36, v[60:63] offset:4800
	ds_write_b128 v36, v[48:51] offset:9600
	buffer_load_dword v36, off, s[36:39], 0 offset:1540 ; 4-byte Folded Reload
	v_add_f64 v[12:13], v[8:9], v[162:163]
	v_add_f64 v[14:15], v[183:184], -v[191:192]
	v_add_f64 v[32:33], v[12:13], v[166:167]
	v_add_f64 v[12:13], v[162:163], v[166:167]
	v_fma_f64 v[8:9], v[12:13], -0.5, v[8:9]
	v_add_f64 v[12:13], v[164:165], -v[168:169]
	v_fma_f64 v[28:29], v[12:13], s[2:3], v[8:9]
	v_fma_f64 v[8:9], v[12:13], s[4:5], v[8:9]
	v_add_f64 v[12:13], v[10:11], v[164:165]
	v_add_f64 v[34:35], v[12:13], v[168:169]
	;; [unrolled: 1-line block ×3, first 2 shown]
	v_fma_f64 v[10:11], v[12:13], -0.5, v[10:11]
	v_add_f64 v[12:13], v[162:163], -v[166:167]
	v_fma_f64 v[30:31], v[12:13], s[4:5], v[10:11]
	v_fma_f64 v[10:11], v[12:13], s[2:3], v[10:11]
	s_waitcnt vmcnt(0)
	ds_write_b128 v36, v[32:35] offset:28800
	ds_write_b128 v36, v[28:31] offset:33600
	;; [unrolled: 1-line block ×3, first 2 shown]
	buffer_load_dword v8, off, s[36:39], 0 offset:1544 ; 4-byte Folded Reload
	v_add_f64 v[12:13], v[4:5], v[170:171]
	v_add_f64 v[24:25], v[12:13], v[211:212]
	;; [unrolled: 1-line block ×3, first 2 shown]
	v_fma_f64 v[4:5], v[12:13], -0.5, v[4:5]
	v_add_f64 v[12:13], v[172:173], -v[213:214]
	v_fma_f64 v[20:21], v[12:13], s[2:3], v[4:5]
	v_fma_f64 v[4:5], v[12:13], s[4:5], v[4:5]
	v_add_f64 v[12:13], v[6:7], v[172:173]
	v_add_f64 v[26:27], v[12:13], v[213:214]
	;; [unrolled: 1-line block ×3, first 2 shown]
	v_fma_f64 v[6:7], v[12:13], -0.5, v[6:7]
	v_add_f64 v[12:13], v[170:171], -v[211:212]
	v_fma_f64 v[22:23], v[12:13], s[4:5], v[6:7]
	v_fma_f64 v[6:7], v[12:13], s[2:3], v[6:7]
	s_waitcnt vmcnt(0)
	ds_write_b128 v8, v[24:27] offset:28800
	ds_write_b128 v8, v[20:23] offset:33600
	;; [unrolled: 1-line block ×3, first 2 shown]
	buffer_load_dword v4, off, s[36:39], 0 offset:1548 ; 4-byte Folded Reload
	v_add_f64 v[12:13], v[0:1], v[215:216]
	v_add_f64 v[16:17], v[12:13], v[185:186]
	;; [unrolled: 1-line block ×3, first 2 shown]
	v_fma_f64 v[0:1], v[12:13], -0.5, v[0:1]
	v_fma_f64 v[12:13], v[14:15], s[2:3], v[0:1]
	v_fma_f64 v[0:1], v[14:15], s[4:5], v[0:1]
	v_add_f64 v[14:15], v[2:3], v[183:184]
	v_add_f64 v[18:19], v[14:15], v[191:192]
	;; [unrolled: 1-line block ×3, first 2 shown]
	v_fma_f64 v[2:3], v[14:15], -0.5, v[2:3]
	v_fma_f64 v[14:15], v[122:123], s[4:5], v[2:3]
	v_fma_f64 v[2:3], v[122:123], s[2:3], v[2:3]
	s_waitcnt vmcnt(0)
	ds_write_b128 v4, v[16:19] offset:28800
	ds_write_b128 v4, v[12:15] offset:33600
	ds_write_b128 v4, v[0:3] offset:38400
	s_waitcnt lgkmcnt(0)
	s_barrier
	ds_read_b128 v[36:39], v104
	ds_read_b128 v[56:59], v104 offset:14400
	ds_read_b128 v[60:63], v104 offset:28800
	;; [unrolled: 1-line block ×29, first 2 shown]
	buffer_load_dword v107, off, s[36:39], 0 offset:1600 ; 4-byte Folded Reload
	buffer_load_dword v108, off, s[36:39], 0 offset:1604 ; 4-byte Folded Reload
	;; [unrolled: 1-line block ×4, first 2 shown]
	s_waitcnt vmcnt(0) lgkmcnt(14)
	v_mul_f64 v[105:106], v[109:110], v[58:59]
	v_fma_f64 v[132:133], v[107:108], v[56:57], v[105:106]
	v_mul_f64 v[56:57], v[109:110], v[56:57]
	v_fma_f64 v[56:57], v[107:108], v[58:59], -v[56:57]
	buffer_load_dword v105, off, s[36:39], 0 offset:1584 ; 4-byte Folded Reload
	buffer_load_dword v106, off, s[36:39], 0 offset:1588 ; 4-byte Folded Reload
	buffer_load_dword v107, off, s[36:39], 0 offset:1592 ; 4-byte Folded Reload
	buffer_load_dword v108, off, s[36:39], 0 offset:1596 ; 4-byte Folded Reload
	s_waitcnt vmcnt(0)
	v_mul_f64 v[58:59], v[107:108], v[62:63]
	v_fma_f64 v[58:59], v[105:106], v[60:61], v[58:59]
	v_mul_f64 v[60:61], v[107:108], v[60:61]
	v_fma_f64 v[60:61], v[105:106], v[62:63], -v[60:61]
	buffer_load_dword v105, off, s[36:39], 0 offset:1636 ; 4-byte Folded Reload
	buffer_load_dword v106, off, s[36:39], 0 offset:1640 ; 4-byte Folded Reload
	buffer_load_dword v107, off, s[36:39], 0 offset:1644 ; 4-byte Folded Reload
	buffer_load_dword v108, off, s[36:39], 0 offset:1648 ; 4-byte Folded Reload
	s_waitcnt vmcnt(0)
	;; [unrolled: 9-line block ×3, first 2 shown]
	v_mul_f64 v[66:67], v[107:108], v[70:71]
	v_fma_f64 v[66:67], v[105:106], v[68:69], v[66:67]
	v_mul_f64 v[68:69], v[107:108], v[68:69]
	v_fma_f64 v[68:69], v[105:106], v[70:71], -v[68:69]
	v_mul_f64 v[70:71], v[234:235], v[74:75]
	v_fma_f64 v[70:71], v[232:233], v[72:73], v[70:71]
	v_mul_f64 v[72:73], v[234:235], v[72:73]
	v_fma_f64 v[134:135], v[232:233], v[74:75], -v[72:73]
	;; [unrolled: 4-line block ×7, first 2 shown]
	s_waitcnt lgkmcnt(13)
	v_mul_f64 v[72:73], v[201:202], v[98:99]
	v_fma_f64 v[114:115], v[199:200], v[96:97], v[72:73]
	v_mul_f64 v[72:73], v[201:202], v[96:97]
	v_fma_f64 v[108:109], v[199:200], v[98:99], -v[72:73]
	s_waitcnt lgkmcnt(12)
	v_mul_f64 v[72:73], v[205:206], v[102:103]
	v_fma_f64 v[106:107], v[203:204], v[100:101], v[72:73]
	v_mul_f64 v[72:73], v[205:206], v[100:101]
	v_fma_f64 v[110:111], v[203:204], v[102:103], -v[72:73]
	s_waitcnt lgkmcnt(10)
	v_mul_f64 v[72:73], v[189:190], v[118:119]
	v_fma_f64 v[96:97], v[187:188], v[116:117], v[72:73]
	v_mul_f64 v[72:73], v[189:190], v[116:117]
	v_add_f64 v[116:117], v[152:153], -v[160:161]
	v_fma_f64 v[100:101], v[187:188], v[118:119], -v[72:73]
	s_waitcnt lgkmcnt(9)
	v_mul_f64 v[72:73], v[197:198], v[122:123]
	v_add_f64 v[118:119], v[112:113], v[166:167]
	v_fma_f64 v[98:99], v[195:196], v[120:121], v[72:73]
	v_mul_f64 v[72:73], v[197:198], v[120:121]
	v_fma_f64 v[118:119], v[118:119], -0.5, v[20:21]
	v_add_f64 v[120:121], v[164:165], -v[168:169]
	v_fma_f64 v[102:103], v[195:196], v[122:123], -v[72:73]
	s_waitcnt lgkmcnt(7)
	v_mul_f64 v[72:73], v[177:178], v[126:127]
	v_add_f64 v[122:123], v[164:165], v[168:169]
	v_fma_f64 v[88:89], v[175:176], v[124:125], v[72:73]
	v_mul_f64 v[72:73], v[177:178], v[124:125]
	v_fma_f64 v[122:123], v[122:123], -0.5, v[22:23]
	v_fma_f64 v[92:93], v[175:176], v[126:127], -v[72:73]
	s_waitcnt lgkmcnt(6)
	v_mul_f64 v[72:73], v[181:182], v[130:131]
	v_add_f64 v[126:127], v[108:109], -v[110:111]
	v_fma_f64 v[90:91], v[179:180], v[128:129], v[72:73]
	v_mul_f64 v[72:73], v[181:182], v[128:129]
	v_fma_f64 v[94:95], v[179:180], v[130:131], -v[72:73]
	s_waitcnt lgkmcnt(4)
	v_mul_f64 v[72:73], v[150:151], v[54:55]
	v_fma_f64 v[80:81], v[148:149], v[52:53], v[72:73]
	v_mul_f64 v[52:53], v[150:151], v[52:53]
	v_fma_f64 v[84:85], v[148:149], v[54:55], -v[52:53]
	s_waitcnt lgkmcnt(3)
	v_mul_f64 v[52:53], v[158:159], v[50:51]
	v_add_f64 v[54:55], v[64:65], v[68:69]
	v_fma_f64 v[82:83], v[156:157], v[48:49], v[52:53]
	v_mul_f64 v[48:49], v[158:159], v[48:49]
	v_fma_f64 v[86:87], v[156:157], v[50:51], -v[48:49]
	s_waitcnt lgkmcnt(1)
	v_mul_f64 v[48:49], v[138:139], v[42:43]
	v_add_f64 v[50:51], v[62:63], v[66:67]
	v_fma_f64 v[72:73], v[136:137], v[40:41], v[48:49]
	v_mul_f64 v[40:41], v[138:139], v[40:41]
	v_add_f64 v[48:49], v[132:133], -v[58:59]
	v_fma_f64 v[76:77], v[136:137], v[42:43], -v[40:41]
	s_waitcnt lgkmcnt(0)
	v_mul_f64 v[40:41], v[146:147], v[34:35]
	v_add_f64 v[42:43], v[56:57], v[60:61]
	v_fma_f64 v[74:75], v[144:145], v[32:33], v[40:41]
	v_mul_f64 v[32:33], v[146:147], v[32:33]
	v_fma_f64 v[78:79], v[144:145], v[34:35], -v[32:33]
	v_add_f64 v[34:35], v[132:133], v[58:59]
	v_add_f64 v[32:33], v[36:37], v[132:133]
	v_fma_f64 v[34:35], v[34:35], -0.5, v[36:37]
	v_add_f64 v[36:37], v[56:57], -v[60:61]
	v_add_f64 v[32:33], v[32:33], v[58:59]
	v_add_f64 v[58:59], v[70:71], v[140:141]
	v_fma_f64 v[40:41], v[36:37], s[2:3], v[34:35]
	v_fma_f64 v[36:37], v[36:37], s[4:5], v[34:35]
	v_add_f64 v[34:35], v[38:39], v[56:57]
	v_fma_f64 v[38:39], v[42:43], -0.5, v[38:39]
	v_add_f64 v[56:57], v[62:63], -v[66:67]
	v_add_f64 v[34:35], v[34:35], v[60:61]
	v_fma_f64 v[42:43], v[48:49], s[4:5], v[38:39]
	v_fma_f64 v[38:39], v[48:49], s[2:3], v[38:39]
	v_add_f64 v[48:49], v[44:45], v[62:63]
	v_fma_f64 v[44:45], v[50:51], -0.5, v[44:45]
	v_add_f64 v[50:51], v[64:65], -v[68:69]
	v_add_f64 v[62:63], v[134:135], v[142:143]
	v_add_f64 v[48:49], v[48:49], v[66:67]
	;; [unrolled: 1-line block ×3, first 2 shown]
	v_fma_f64 v[52:53], v[50:51], s[2:3], v[44:45]
	v_fma_f64 v[44:45], v[50:51], s[4:5], v[44:45]
	v_add_f64 v[50:51], v[46:47], v[64:65]
	v_fma_f64 v[46:47], v[54:55], -0.5, v[46:47]
	v_add_f64 v[64:65], v[70:71], -v[140:141]
	v_add_f64 v[50:51], v[50:51], v[68:69]
	v_fma_f64 v[54:55], v[56:57], s[4:5], v[46:47]
	v_fma_f64 v[46:47], v[56:57], s[2:3], v[46:47]
	v_add_f64 v[56:57], v[28:29], v[70:71]
	v_fma_f64 v[28:29], v[58:59], -0.5, v[28:29]
	v_add_f64 v[58:59], v[134:135], -v[142:143]
	v_add_f64 v[70:71], v[154:155], v[162:163]
	v_add_f64 v[56:57], v[56:57], v[140:141]
	v_fma_f64 v[60:61], v[58:59], s[2:3], v[28:29]
	v_fma_f64 v[28:29], v[58:59], s[4:5], v[28:29]
	v_add_f64 v[58:59], v[30:31], v[134:135]
	v_fma_f64 v[30:31], v[62:63], -0.5, v[30:31]
	v_add_f64 v[58:59], v[58:59], v[142:143]
	v_fma_f64 v[62:63], v[64:65], s[4:5], v[30:31]
	v_fma_f64 v[30:31], v[64:65], s[2:3], v[30:31]
	v_add_f64 v[64:65], v[24:25], v[152:153]
	v_fma_f64 v[24:25], v[66:67], -0.5, v[24:25]
	v_add_f64 v[66:67], v[154:155], -v[162:163]
	v_add_f64 v[64:65], v[64:65], v[160:161]
	v_fma_f64 v[68:69], v[66:67], s[2:3], v[24:25]
	v_fma_f64 v[24:25], v[66:67], s[4:5], v[24:25]
	v_add_f64 v[66:67], v[26:27], v[154:155]
	v_fma_f64 v[26:27], v[70:71], -0.5, v[26:27]
	v_add_f64 v[66:67], v[66:67], v[162:163]
	v_fma_f64 v[70:71], v[116:117], s[4:5], v[26:27]
	v_fma_f64 v[26:27], v[116:117], s[2:3], v[26:27]
	v_add_f64 v[116:117], v[20:21], v[112:113]
	v_add_f64 v[112:113], v[112:113], -v[166:167]
	v_fma_f64 v[20:21], v[120:121], s[2:3], v[118:119]
	v_fma_f64 v[120:121], v[120:121], s[4:5], v[118:119]
	v_add_f64 v[118:119], v[22:23], v[164:165]
	v_add_f64 v[116:117], v[116:117], v[166:167]
	v_fma_f64 v[22:23], v[112:113], s[4:5], v[122:123]
	v_fma_f64 v[122:123], v[112:113], s[2:3], v[122:123]
	v_add_f64 v[112:113], v[16:17], v[114:115]
	v_add_f64 v[118:119], v[118:119], v[168:169]
	;; [unrolled: 1-line block ×4, first 2 shown]
	v_add_f64 v[105:106], v[114:115], -v[106:107]
	v_fma_f64 v[112:113], v[112:113], -0.5, v[16:17]
	v_fma_f64 v[16:17], v[126:127], s[2:3], v[112:113]
	v_fma_f64 v[112:113], v[126:127], s[4:5], v[112:113]
	v_add_f64 v[126:127], v[18:19], v[108:109]
	v_add_f64 v[108:109], v[108:109], v[110:111]
	;; [unrolled: 1-line block ×3, first 2 shown]
	v_fma_f64 v[108:109], v[108:109], -0.5, v[18:19]
	v_fma_f64 v[18:19], v[105:106], s[4:5], v[108:109]
	v_fma_f64 v[114:115], v[105:106], s[2:3], v[108:109]
	v_add_f64 v[107:108], v[96:97], v[98:99]
	v_add_f64 v[109:110], v[100:101], -v[102:103]
	v_add_f64 v[105:106], v[12:13], v[96:97]
	v_add_f64 v[96:97], v[96:97], -v[98:99]
	v_fma_f64 v[107:108], v[107:108], -0.5, v[12:13]
	v_add_f64 v[105:106], v[105:106], v[98:99]
	v_add_f64 v[98:99], v[88:89], v[90:91]
	v_fma_f64 v[12:13], v[109:110], s[2:3], v[107:108]
	v_fma_f64 v[128:129], v[109:110], s[4:5], v[107:108]
	v_add_f64 v[107:108], v[14:15], v[100:101]
	v_add_f64 v[100:101], v[100:101], v[102:103]
	v_fma_f64 v[98:99], v[98:99], -0.5, v[8:9]
	v_add_f64 v[107:108], v[107:108], v[102:103]
	v_fma_f64 v[100:101], v[100:101], -0.5, v[14:15]
	v_fma_f64 v[14:15], v[96:97], s[4:5], v[100:101]
	v_fma_f64 v[130:131], v[96:97], s[2:3], v[100:101]
	v_add_f64 v[100:101], v[92:93], -v[94:95]
	v_add_f64 v[96:97], v[8:9], v[88:89]
	v_add_f64 v[88:89], v[88:89], -v[90:91]
	v_fma_f64 v[8:9], v[100:101], s[2:3], v[98:99]
	v_fma_f64 v[100:101], v[100:101], s[4:5], v[98:99]
	v_add_f64 v[98:99], v[10:11], v[92:93]
	v_add_f64 v[92:93], v[92:93], v[94:95]
	;; [unrolled: 1-line block ×5, first 2 shown]
	v_fma_f64 v[92:93], v[92:93], -0.5, v[10:11]
	v_fma_f64 v[90:91], v[90:91], -0.5, v[4:5]
	v_fma_f64 v[10:11], v[88:89], s[4:5], v[92:93]
	v_fma_f64 v[102:103], v[88:89], s[2:3], v[92:93]
	v_add_f64 v[92:93], v[84:85], -v[86:87]
	v_add_f64 v[88:89], v[4:5], v[80:81]
	v_add_f64 v[80:81], v[80:81], -v[82:83]
	v_fma_f64 v[4:5], v[92:93], s[2:3], v[90:91]
	v_fma_f64 v[92:93], v[92:93], s[4:5], v[90:91]
	v_add_f64 v[90:91], v[6:7], v[84:85]
	v_add_f64 v[84:85], v[84:85], v[86:87]
	;; [unrolled: 1-line block ×5, first 2 shown]
	v_fma_f64 v[84:85], v[84:85], -0.5, v[6:7]
	v_fma_f64 v[82:83], v[82:83], -0.5, v[0:1]
	v_fma_f64 v[6:7], v[80:81], s[4:5], v[84:85]
	v_fma_f64 v[94:95], v[80:81], s[2:3], v[84:85]
	v_add_f64 v[84:85], v[76:77], -v[78:79]
	v_add_f64 v[80:81], v[0:1], v[72:73]
	v_add_f64 v[72:73], v[72:73], -v[74:75]
	v_fma_f64 v[0:1], v[84:85], s[2:3], v[82:83]
	v_fma_f64 v[84:85], v[84:85], s[4:5], v[82:83]
	v_add_f64 v[82:83], v[2:3], v[76:77]
	v_add_f64 v[76:77], v[76:77], v[78:79]
	;; [unrolled: 1-line block ×4, first 2 shown]
	v_fma_f64 v[76:77], v[76:77], -0.5, v[2:3]
	v_fma_f64 v[2:3], v[72:73], s[4:5], v[76:77]
	v_fma_f64 v[86:87], v[72:73], s[2:3], v[76:77]
	ds_write_b128 v104, v[32:35]
	ds_write_b128 v104, v[40:43] offset:14400
	ds_write_b128 v104, v[36:39] offset:28800
	;; [unrolled: 1-line block ×29, first 2 shown]
	s_waitcnt lgkmcnt(0)
	s_barrier
	ds_read_b128 v[0:3], v104
	buffer_load_dword v6, off, s[36:39], 0 offset:24 ; 4-byte Folded Reload
	buffer_load_dword v7, off, s[36:39], 0 offset:28 ; 4-byte Folded Reload
	;; [unrolled: 1-line block ×4, first 2 shown]
	s_mov_b32 s2, 0xa0ce5129
	s_mov_b32 s3, 0x3f3845c8
	s_waitcnt vmcnt(0) lgkmcnt(0)
	v_mul_f64 v[4:5], v[8:9], v[2:3]
	v_fma_f64 v[4:5], v[6:7], v[0:1], v[4:5]
	v_mul_f64 v[0:1], v[8:9], v[0:1]
	v_mov_b32_e32 v8, s13
	v_mul_f64 v[4:5], v[4:5], s[2:3]
	v_fma_f64 v[0:1], v[6:7], v[2:3], -v[0:1]
	buffer_load_dword v2, off, s[36:39], 0 offset:488 ; 4-byte Folded Reload
	v_mul_f64 v[6:7], v[0:1], s[2:3]
	s_waitcnt vmcnt(0)
	v_mad_u64_u32 v[0:1], s[4:5], s0, v2, 0
	v_mad_u64_u32 v[1:2], s[4:5], s1, v2, v[1:2]
	buffer_load_dword v2, off, s[36:39], 0 offset:16 ; 4-byte Folded Reload
	buffer_load_dword v3, off, s[36:39], 0 offset:20 ; 4-byte Folded Reload
	s_mul_i32 s4, s1, 0x3840
	v_lshlrev_b64 v[0:1], 4, v[0:1]
	s_mul_hi_u32 s5, s0, 0x3840
	s_add_i32 s4, s5, s4
	s_mul_i32 s5, s0, 0x3840
	s_mulk_i32 s1, 0x9520
	s_add_i32 s1, s6, s1
	s_mulk_i32 s0, 0x9520
	s_waitcnt vmcnt(0)
	v_lshlrev_b64 v[2:3], 4, v[2:3]
	v_add_co_u32_e32 v2, vcc, s12, v2
	v_addc_co_u32_e32 v3, vcc, v8, v3, vcc
	v_add_co_u32_e32 v8, vcc, v2, v0
	v_addc_co_u32_e32 v9, vcc, v3, v1, vcc
	global_store_dwordx4 v[8:9], v[4:7], off
	ds_read_b128 v[0:3], v104 offset:14400
	buffer_load_dword v10, off, s[36:39], 0 offset:40 ; 4-byte Folded Reload
	buffer_load_dword v11, off, s[36:39], 0 offset:44 ; 4-byte Folded Reload
	buffer_load_dword v12, off, s[36:39], 0 offset:48 ; 4-byte Folded Reload
	buffer_load_dword v13, off, s[36:39], 0 offset:52 ; 4-byte Folded Reload
	v_add_co_u32_e32 v8, vcc, s5, v8
	s_waitcnt vmcnt(0) lgkmcnt(0)
	v_mul_f64 v[4:5], v[12:13], v[2:3]
	v_fma_f64 v[4:5], v[10:11], v[0:1], v[4:5]
	v_mul_f64 v[0:1], v[12:13], v[0:1]
	v_mul_f64 v[4:5], v[4:5], s[2:3]
	v_fma_f64 v[0:1], v[10:11], v[2:3], -v[0:1]
	v_mul_f64 v[6:7], v[0:1], s[2:3]
	v_mov_b32_e32 v0, s4
	v_addc_co_u32_e32 v9, vcc, v9, v0, vcc
	ds_read_b128 v[0:3], v104 offset:28800
	global_store_dwordx4 v[8:9], v[4:7], off
	buffer_load_dword v10, off, s[36:39], 0 offset:56 ; 4-byte Folded Reload
	buffer_load_dword v11, off, s[36:39], 0 offset:60 ; 4-byte Folded Reload
	buffer_load_dword v12, off, s[36:39], 0 offset:64 ; 4-byte Folded Reload
	buffer_load_dword v13, off, s[36:39], 0 offset:68 ; 4-byte Folded Reload
	v_add_co_u32_e32 v8, vcc, s5, v8
	s_waitcnt vmcnt(0) lgkmcnt(0)
	v_mul_f64 v[4:5], v[12:13], v[2:3]
	v_fma_f64 v[4:5], v[10:11], v[0:1], v[4:5]
	v_mul_f64 v[0:1], v[12:13], v[0:1]
	v_mul_f64 v[4:5], v[4:5], s[2:3]
	v_fma_f64 v[0:1], v[10:11], v[2:3], -v[0:1]
	v_mul_f64 v[6:7], v[0:1], s[2:3]
	v_mov_b32_e32 v0, s4
	v_addc_co_u32_e32 v9, vcc, v9, v0, vcc
	ds_read_b128 v[0:3], v104 offset:1440
	global_store_dwordx4 v[8:9], v[4:7], off
	;; [unrolled: 16-line block ×27, first 2 shown]
	buffer_load_dword v10, off, s[36:39], 0 offset:472 ; 4-byte Folded Reload
	buffer_load_dword v11, off, s[36:39], 0 offset:476 ; 4-byte Folded Reload
	;; [unrolled: 1-line block ×4, first 2 shown]
	s_waitcnt vmcnt(0) lgkmcnt(0)
	v_mul_f64 v[4:5], v[12:13], v[2:3]
	v_fma_f64 v[4:5], v[10:11], v[0:1], v[4:5]
	v_mul_f64 v[0:1], v[12:13], v[0:1]
	v_mul_f64 v[4:5], v[4:5], s[2:3]
	v_fma_f64 v[0:1], v[10:11], v[2:3], -v[0:1]
	v_mul_f64 v[6:7], v[0:1], s[2:3]
	v_add_co_u32_e32 v0, vcc, s5, v8
	v_mov_b32_e32 v1, s4
	v_addc_co_u32_e32 v1, vcc, v9, v1, vcc
	global_store_dwordx4 v[0:1], v[4:7], off
	ds_read_b128 v[2:5], v104 offset:41760
	buffer_load_dword v8, off, s[36:39], 0  ; 4-byte Folded Reload
	buffer_load_dword v9, off, s[36:39], 0 offset:4 ; 4-byte Folded Reload
	buffer_load_dword v10, off, s[36:39], 0 offset:8 ; 4-byte Folded Reload
	;; [unrolled: 1-line block ×3, first 2 shown]
	v_add_co_u32_e32 v0, vcc, s5, v0
	s_waitcnt vmcnt(0) lgkmcnt(0)
	v_mul_f64 v[6:7], v[10:11], v[4:5]
	v_fma_f64 v[6:7], v[8:9], v[2:3], v[6:7]
	v_mul_f64 v[2:3], v[10:11], v[2:3]
	v_mul_f64 v[6:7], v[6:7], s[2:3]
	v_fma_f64 v[2:3], v[8:9], v[4:5], -v[2:3]
	v_mul_f64 v[8:9], v[2:3], s[2:3]
	v_mov_b32_e32 v2, s4
	v_addc_co_u32_e32 v1, vcc, v1, v2, vcc
	global_store_dwordx4 v[0:1], v[6:9], off
.LBB0_2:
	s_endpgm
	.section	.rodata,"a",@progbits
	.p2align	6, 0x0
	.amdhsa_kernel bluestein_single_back_len2700_dim1_dp_op_CI_CI
		.amdhsa_group_segment_fixed_size 43200
		.amdhsa_private_segment_fixed_size 1668
		.amdhsa_kernarg_size 104
		.amdhsa_user_sgpr_count 6
		.amdhsa_user_sgpr_private_segment_buffer 1
		.amdhsa_user_sgpr_dispatch_ptr 0
		.amdhsa_user_sgpr_queue_ptr 0
		.amdhsa_user_sgpr_kernarg_segment_ptr 1
		.amdhsa_user_sgpr_dispatch_id 0
		.amdhsa_user_sgpr_flat_scratch_init 0
		.amdhsa_user_sgpr_private_segment_size 0
		.amdhsa_uses_dynamic_stack 0
		.amdhsa_system_sgpr_private_segment_wavefront_offset 1
		.amdhsa_system_sgpr_workgroup_id_x 1
		.amdhsa_system_sgpr_workgroup_id_y 0
		.amdhsa_system_sgpr_workgroup_id_z 0
		.amdhsa_system_sgpr_workgroup_info 0
		.amdhsa_system_vgpr_workitem_id 0
		.amdhsa_next_free_vgpr 256
		.amdhsa_next_free_sgpr 40
		.amdhsa_reserve_vcc 1
		.amdhsa_reserve_flat_scratch 0
		.amdhsa_float_round_mode_32 0
		.amdhsa_float_round_mode_16_64 0
		.amdhsa_float_denorm_mode_32 3
		.amdhsa_float_denorm_mode_16_64 3
		.amdhsa_dx10_clamp 1
		.amdhsa_ieee_mode 1
		.amdhsa_fp16_overflow 0
		.amdhsa_exception_fp_ieee_invalid_op 0
		.amdhsa_exception_fp_denorm_src 0
		.amdhsa_exception_fp_ieee_div_zero 0
		.amdhsa_exception_fp_ieee_overflow 0
		.amdhsa_exception_fp_ieee_underflow 0
		.amdhsa_exception_fp_ieee_inexact 0
		.amdhsa_exception_int_div_zero 0
	.end_amdhsa_kernel
	.text
.Lfunc_end0:
	.size	bluestein_single_back_len2700_dim1_dp_op_CI_CI, .Lfunc_end0-bluestein_single_back_len2700_dim1_dp_op_CI_CI
                                        ; -- End function
	.section	.AMDGPU.csdata,"",@progbits
; Kernel info:
; codeLenInByte = 49008
; NumSgprs: 44
; NumVgprs: 256
; ScratchSize: 1668
; MemoryBound: 0
; FloatMode: 240
; IeeeMode: 1
; LDSByteSize: 43200 bytes/workgroup (compile time only)
; SGPRBlocks: 5
; VGPRBlocks: 63
; NumSGPRsForWavesPerEU: 44
; NumVGPRsForWavesPerEU: 256
; Occupancy: 1
; WaveLimiterHint : 1
; COMPUTE_PGM_RSRC2:SCRATCH_EN: 1
; COMPUTE_PGM_RSRC2:USER_SGPR: 6
; COMPUTE_PGM_RSRC2:TRAP_HANDLER: 0
; COMPUTE_PGM_RSRC2:TGID_X_EN: 1
; COMPUTE_PGM_RSRC2:TGID_Y_EN: 0
; COMPUTE_PGM_RSRC2:TGID_Z_EN: 0
; COMPUTE_PGM_RSRC2:TIDIG_COMP_CNT: 0
	.type	__hip_cuid_669c167863a9f831,@object ; @__hip_cuid_669c167863a9f831
	.section	.bss,"aw",@nobits
	.globl	__hip_cuid_669c167863a9f831
__hip_cuid_669c167863a9f831:
	.byte	0                               ; 0x0
	.size	__hip_cuid_669c167863a9f831, 1

	.ident	"AMD clang version 19.0.0git (https://github.com/RadeonOpenCompute/llvm-project roc-6.4.0 25133 c7fe45cf4b819c5991fe208aaa96edf142730f1d)"
	.section	".note.GNU-stack","",@progbits
	.addrsig
	.addrsig_sym __hip_cuid_669c167863a9f831
	.amdgpu_metadata
---
amdhsa.kernels:
  - .args:
      - .actual_access:  read_only
        .address_space:  global
        .offset:         0
        .size:           8
        .value_kind:     global_buffer
      - .actual_access:  read_only
        .address_space:  global
        .offset:         8
        .size:           8
        .value_kind:     global_buffer
      - .actual_access:  read_only
        .address_space:  global
        .offset:         16
        .size:           8
        .value_kind:     global_buffer
      - .actual_access:  read_only
        .address_space:  global
        .offset:         24
        .size:           8
        .value_kind:     global_buffer
      - .actual_access:  read_only
        .address_space:  global
        .offset:         32
        .size:           8
        .value_kind:     global_buffer
      - .offset:         40
        .size:           8
        .value_kind:     by_value
      - .address_space:  global
        .offset:         48
        .size:           8
        .value_kind:     global_buffer
      - .address_space:  global
        .offset:         56
        .size:           8
        .value_kind:     global_buffer
      - .address_space:  global
        .offset:         64
        .size:           8
        .value_kind:     global_buffer
      - .address_space:  global
        .offset:         72
        .size:           8
        .value_kind:     global_buffer
      - .offset:         80
        .size:           4
        .value_kind:     by_value
      - .address_space:  global
        .offset:         88
        .size:           8
        .value_kind:     global_buffer
      - .address_space:  global
        .offset:         96
        .size:           8
        .value_kind:     global_buffer
    .group_segment_fixed_size: 43200
    .kernarg_segment_align: 8
    .kernarg_segment_size: 104
    .language:       OpenCL C
    .language_version:
      - 2
      - 0
    .max_flat_workgroup_size: 90
    .name:           bluestein_single_back_len2700_dim1_dp_op_CI_CI
    .private_segment_fixed_size: 1668
    .sgpr_count:     44
    .sgpr_spill_count: 0
    .symbol:         bluestein_single_back_len2700_dim1_dp_op_CI_CI.kd
    .uniform_work_group_size: 1
    .uses_dynamic_stack: false
    .vgpr_count:     256
    .vgpr_spill_count: 416
    .wavefront_size: 64
amdhsa.target:   amdgcn-amd-amdhsa--gfx906
amdhsa.version:
  - 1
  - 2
...

	.end_amdgpu_metadata
